;; amdgpu-corpus repo=ROCm/Tensile kind=harvested arch=n/a opt=n/a

/******************************************/
/* Function Prefix                        */
/******************************************/



/******************************************/
/* Begin Kernel                           */
/******************************************/

// Component.Signature.SignatureDefault
.amdgcn_target "amdgcn-amd-amdhsa--gfx942"
.text
.protected Cijk_Ailk_Bjlk_SB_MT16x256x32_MI16x16x1x4_SN_1LDSB0_APM1_AF0EM1_AF1EM1_AMAS0_ASGT_ASLT033_333_ASEM1_BL1_BS1_CLR0_DTVA0_DTVB1_ETSP_EPS1_ELFLR0_EMLL0_FSSC10_FL0_GLVWA1_GLVWB1_GRCGA1_GRCGB1_GRVWn1_GSU1_GSUASB_GLS0_IU1_K1_LBSPPA0_LBSPPB0_LPA16_LPB0_LRVW1_MIAV0_MKFGSU256_NTA0_NTB0_NTC0_NTD0_NEPBS0_NLCA1_NLCB1_ONLL1_PK0_PGR2_PLR1_PKA0_SIA3_SS0_SU32_SUM0_SUS256_SPO0_SRVW0_SSO0_SVW4_TSGRA0_TSGRB0_TT1_16_TLDS0_UMLDSA0_UMLDSB0_USFGROn1_VAW1_VSn1_VW1_VWB1_VFLRP0_WSGRA0_WSGRB0_WG16_16_1_WGM12
.globl Cijk_Ailk_Bjlk_SB_MT16x256x32_MI16x16x1x4_SN_1LDSB0_APM1_AF0EM1_AF1EM1_AMAS0_ASGT_ASLT033_333_ASEM1_BL1_BS1_CLR0_DTVA0_DTVB1_ETSP_EPS1_ELFLR0_EMLL0_FSSC10_FL0_GLVWA1_GLVWB1_GRCGA1_GRCGB1_GRVWn1_GSU1_GSUASB_GLS0_IU1_K1_LBSPPA0_LBSPPB0_LPA16_LPB0_LRVW1_MIAV0_MKFGSU256_NTA0_NTB0_NTC0_NTD0_NEPBS0_NLCA1_NLCB1_ONLL1_PK0_PGR2_PLR1_PKA0_SIA3_SS0_SU32_SUM0_SUS256_SPO0_SRVW0_SSO0_SVW4_TSGRA0_TSGRB0_TT1_16_TLDS0_UMLDSA0_UMLDSB0_USFGROn1_VAW1_VSn1_VW1_VWB1_VFLRP0_WSGRA0_WSGRB0_WG16_16_1_WGM12
.p2align 8
.type Cijk_Ailk_Bjlk_SB_MT16x256x32_MI16x16x1x4_SN_1LDSB0_APM1_AF0EM1_AF1EM1_AMAS0_ASGT_ASLT033_333_ASEM1_BL1_BS1_CLR0_DTVA0_DTVB1_ETSP_EPS1_ELFLR0_EMLL0_FSSC10_FL0_GLVWA1_GLVWB1_GRCGA1_GRCGB1_GRVWn1_GSU1_GSUASB_GLS0_IU1_K1_LBSPPA0_LBSPPB0_LPA16_LPB0_LRVW1_MIAV0_MKFGSU256_NTA0_NTB0_NTC0_NTD0_NEPBS0_NLCA1_NLCB1_ONLL1_PK0_PGR2_PLR1_PKA0_SIA3_SS0_SU32_SUM0_SUS256_SPO0_SRVW0_SSO0_SVW4_TSGRA0_TSGRB0_TT1_16_TLDS0_UMLDSA0_UMLDSB0_USFGROn1_VAW1_VSn1_VW1_VWB1_VFLRP0_WSGRA0_WSGRB0_WG16_16_1_WGM12,@function
.section .rodata,#alloc
.p2align 6
.amdhsa_kernel Cijk_Ailk_Bjlk_SB_MT16x256x32_MI16x16x1x4_SN_1LDSB0_APM1_AF0EM1_AF1EM1_AMAS0_ASGT_ASLT033_333_ASEM1_BL1_BS1_CLR0_DTVA0_DTVB1_ETSP_EPS1_ELFLR0_EMLL0_FSSC10_FL0_GLVWA1_GLVWB1_GRCGA1_GRCGB1_GRVWn1_GSU1_GSUASB_GLS0_IU1_K1_LBSPPA0_LBSPPB0_LPA16_LPB0_LRVW1_MIAV0_MKFGSU256_NTA0_NTB0_NTC0_NTD0_NEPBS0_NLCA1_NLCB1_ONLL1_PK0_PGR2_PLR1_PKA0_SIA3_SS0_SU32_SUM0_SUS256_SPO0_SRVW0_SSO0_SVW4_TSGRA0_TSGRB0_TT1_16_TLDS0_UMLDSA0_UMLDSB0_USFGROn1_VAW1_VSn1_VW1_VWB1_VFLRP0_WSGRA0_WSGRB0_WG16_16_1_WGM12
  .amdhsa_user_sgpr_kernarg_segment_ptr 1
  .amdhsa_user_sgpr_kernarg_preload_offset 0
  .amdhsa_user_sgpr_kernarg_preload_length 0
  .amdhsa_user_sgpr_count 2
  .amdhsa_accum_offset 152 // accvgpr offset
  .amdhsa_next_free_vgpr 168 // vgprs
  .amdhsa_next_free_sgpr 63 // sgprs
  .amdhsa_group_segment_fixed_size 8192 // lds bytes
  .amdhsa_private_segment_fixed_size 0
  .amdhsa_system_sgpr_workgroup_id_x 1
  .amdhsa_system_sgpr_workgroup_id_y 1
  .amdhsa_system_sgpr_workgroup_id_z 1
  .amdhsa_system_vgpr_workitem_id 0
  .amdhsa_float_denorm_mode_32 3
  .amdhsa_float_denorm_mode_16_64 3
.end_amdhsa_kernel
.text

/******************************************/
/* Optimizations and Config:              */
/******************************************/
/* ThreadTile= 4 x 4 */
/* SubGroup= 4 x 64 */
/* VectorWidthA=1 */
/* VectorWidthB=1 */
/* GlobalLoadVectorWidthA=1, GlobalLoadVectorWidthB=1 */
/* DirectToLdsA=False */
/* DirectToLdsB=False */
/* UseSgprForGRO=0 */
.amdgpu_metadata
---
amdhsa.version:
  - 1
  - 1
amdhsa.target: amdgcn-amd-amdhsa--gfx942
amdhsa.kernels:
  - .name: Cijk_Ailk_Bjlk_SB_MT16x256x32_MI16x16x1x4_SN_1LDSB0_APM1_AF0EM1_AF1EM1_AMAS0_ASGT_ASLT033_333_ASEM1_BL1_BS1_CLR0_DTVA0_DTVB1_ETSP_EPS1_ELFLR0_EMLL0_FSSC10_FL0_GLVWA1_GLVWB1_GRCGA1_GRCGB1_GRVWn1_GSU1_GSUASB_GLS0_IU1_K1_LBSPPA0_LBSPPB0_LPA16_LPB0_LRVW1_MIAV0_MKFGSU256_NTA0_NTB0_NTC0_NTD0_NEPBS0_NLCA1_NLCB1_ONLL1_PK0_PGR2_PLR1_PKA0_SIA3_SS0_SU32_SUM0_SUS256_SPO0_SRVW0_SSO0_SVW4_TSGRA0_TSGRB0_TT1_16_TLDS0_UMLDSA0_UMLDSB0_USFGROn1_VAW1_VSn1_VW1_VWB1_VFLRP0_WSGRA0_WSGRB0_WG16_16_1_WGM12
    .symbol: 'Cijk_Ailk_Bjlk_SB_MT16x256x32_MI16x16x1x4_SN_1LDSB0_APM1_AF0EM1_AF1EM1_AMAS0_ASGT_ASLT033_333_ASEM1_BL1_BS1_CLR0_DTVA0_DTVB1_ETSP_EPS1_ELFLR0_EMLL0_FSSC10_FL0_GLVWA1_GLVWB1_GRCGA1_GRCGB1_GRVWn1_GSU1_GSUASB_GLS0_IU1_K1_LBSPPA0_LBSPPB0_LPA16_LPB0_LRVW1_MIAV0_MKFGSU256_NTA0_NTB0_NTC0_NTD0_NEPBS0_NLCA1_NLCB1_ONLL1_PK0_PGR2_PLR1_PKA0_SIA3_SS0_SU32_SUM0_SUS256_SPO0_SRVW0_SSO0_SVW4_TSGRA0_TSGRB0_TT1_16_TLDS0_UMLDSA0_UMLDSB0_USFGROn1_VAW1_VSn1_VW1_VWB1_VFLRP0_WSGRA0_WSGRB0_WG16_16_1_WGM12.kd'
    .language:                   OpenCL C
    .language_version:
      - 2
      - 0
    .args:
      - .name:            Tensor2dSizeA
        .size:            8
        .offset:          0
        .value_kind:      by_value
        .value_type:      u64
      - .name:            Tensor2dSizeB
        .size:            8
        .offset:          8
        .value_kind:      by_value
        .value_type:      u64
      - .name:            AddressD
        .size:            8
        .offset:          16
        .value_kind:      by_value
        .value_type:      u64
      - .name:            AddressC
        .size:            8
        .offset:          24
        .value_kind:      by_value
        .value_type:      u64
      - .name:            AddressA
        .size:            8
        .offset:          32
        .value_kind:      by_value
        .value_type:      u64
      - .name:            AddressB
        .size:            8
        .offset:          40
        .value_kind:      by_value
        .value_type:      u64
      - .name:            Alpha
        .size:            4
        .offset:          48
        .value_kind:      by_value
        .value_type:      u32
      - .name:            Beta
        .size:            4
        .offset:          52
        .value_kind:      by_value
        .value_type:      u32
      - .name:            StridesD
        .size:            8
        .offset:          56
        .value_kind:      by_value
        .value_type:      u64
      - .name:            StridesC
        .size:            8
        .offset:          64
        .value_kind:      by_value
        .value_type:      u64
      - .name:            StridesA
        .size:            8
        .offset:          72
        .value_kind:      by_value
        .value_type:      u64
      - .name:            StridesB
        .size:            8
        .offset:          80
        .value_kind:      by_value
        .value_type:      u64
      - .name:            SizesFree
        .size:            12
        .offset:          88
        .value_kind:      by_value
        .value_type:      u96
      - .name:            SizesSum
        .size:            4
        .offset:          100
        .value_kind:      by_value
        .value_type:      u32
      - .name:            OrigStaggerUIter
        .size:            4
        .offset:          104
        .value_kind:      by_value
        .value_type:      u32
      - .name:            NumWorkGroups0
        .size:            4
        .offset:          108
        .value_kind:      by_value
        .value_type:      u32
      - .name:            NumWorkGroups1
        .size:            4
        .offset:          112
        .value_kind:      by_value
        .value_type:      u32
      - .name:            NumFullBlocks
        .size:            4
        .offset:          116
        .value_kind:      by_value
        .value_type:      u32
      - .name:            WgmRemainder1
        .size:            4
        .offset:          120
        .value_kind:      by_value
        .value_type:      u32
      - .name:            MagicNumberWgmRemainder1
        .size:            4
        .offset:          124
        .value_kind:      by_value
        .value_type:      u32
    .group_segment_fixed_size:   8192
    .kernarg_segment_align:      8
    .kernarg_segment_size:       128
    .max_flat_workgroup_size:    256
    .private_segment_fixed_size: 0
    .sgpr_count:                 63
    .sgpr_spill_count:           0
    .vgpr_count:                 152
    .vgpr_spill_count:           0
    .wavefront_size:             64
...
.end_amdgpu_metadata
Cijk_Ailk_Bjlk_SB_MT16x256x32_MI16x16x1x4_SN_1LDSB0_APM1_AF0EM1_AF1EM1_AMAS0_ASGT_ASLT033_333_ASEM1_BL1_BS1_CLR0_DTVA0_DTVB1_ETSP_EPS1_ELFLR0_EMLL0_FSSC10_FL0_GLVWA1_GLVWB1_GRCGA1_GRCGB1_GRVWn1_GSU1_GSUASB_GLS0_IU1_K1_LBSPPA0_LBSPPB0_LPA16_LPB0_LRVW1_MIAV0_MKFGSU256_NTA0_NTB0_NTC0_NTD0_NEPBS0_NLCA1_NLCB1_ONLL1_PK0_PGR2_PLR1_PKA0_SIA3_SS0_SU32_SUM0_SUS256_SPO0_SRVW0_SSO0_SVW4_TSGRA0_TSGRB0_TT1_16_TLDS0_UMLDSA0_UMLDSB0_USFGROn1_VAW1_VSn1_VW1_VWB1_VFLRP0_WSGRA0_WSGRB0_WG16_16_1_WGM12:

/******************************************/
/* Asm syntax workarounds                 */
/******************************************/
.macro _v_add_co_u32 dst:req, cc:req, src0:req, src1:req, dpp=
   v_add_co_u32 \dst, \cc, \src0, \src1 \dpp
.endm

.macro _v_add_u32 dst:req, src0:req, src1:req, dpp=
   v_add_u32 \dst, \src0, \src1 \dpp
.endm

.macro _v_add_i32 dst:req, src0:req, src1:req, dpp=
   v_add_i32 \dst, \src0, \src1 \dpp
.endm

.macro _v_addc_co_u32 dst:req, ccOut:req, src0:req, ccIn:req, src1:req, dpp=
   v_addc_co_u32 \dst, \ccOut, \src0, \ccIn, \src1 \dpp
.endm

.macro _v_sub_co_u32 dst:req, cc:req, src0:req, src1:req, dpp=
   v_sub_co_u32 \dst, \cc, \src0, \src1 \dpp
.endm

.macro _v_sub_u32 dst:req, src0:req, src1:req, dpp=
   v_sub_u32 \dst, \src0, \src1 \dpp
.endm

.macro _v_sub_i32 dst:req, src0:req, src1:req, dpp=
   v_sub_i32 \dst, \src0, \src1 \dpp
.endm

.macro _v_add_lshl_u32 dst:req, src0:req, src1:req, shiftCnt:req
    v_add_lshl_u32 \dst, \src0, \src1, \shiftCnt
.endm

.macro _v_lshl_add_u32 dst:req, src0:req, src1:req, shiftCnt:req
    v_lshl_add_u32 \dst, \src0, \src1, \shiftCnt
.endm

.macro _v_lshl_or_b32 dst:req, src0:req, shiftCnt:req, src1:req
    v_lshl_or_b32 \dst, \src0, \shiftCnt, \src1
.endm

.macro _v_dot2acc_f32_f16 dst, src0, src1
v_dot2c_f32_f16 \dst, \src0, \src1
.endm

.macro _v_cmpx_lt_i16 dst, src0, src1=
   v_cmpx_lt_i16 \dst, \src0, \src1 
.endm

.macro _v_cmpx_lt_i32 dst, src0, src1=
   v_cmpx_lt_i32 \dst, \src0, \src1 
.endm

.macro _v_cmpx_lt_i64 dst, src0, src1=
   v_cmpx_lt_i64 \dst, \src0, \src1 
.endm

.macro _v_cmpx_lt_u16 dst, src0, src1=
   v_cmpx_lt_u16 \dst, \src0, \src1 
.endm

.macro _v_cmpx_lt_u32 dst, src0, src1=
   v_cmpx_lt_u32 \dst, \src0, \src1 
.endm

.macro _v_cmpx_lt_u64 dst, src0, src1=
   v_cmpx_lt_u64 \dst, \src0, \src1 
.endm

.macro _v_cmpx_eq_i16 dst, src0, src1=
   v_cmpx_eq_i16 \dst, \src0, \src1 
.endm

.macro _v_cmpx_eq_i32 dst, src0, src1=
   v_cmpx_eq_i32 \dst, \src0, \src1 
.endm

.macro _v_cmpx_eq_i64 dst, src0, src1=
   v_cmpx_eq_i64 \dst, \src0, \src1 
.endm

.macro _v_cmpx_eq_u16 dst, src0, src1=
   v_cmpx_eq_u16 \dst, \src0, \src1 
.endm

.macro _v_cmpx_eq_u32 dst, src0, src1=
   v_cmpx_eq_u32 \dst, \src0, \src1 
.endm

.macro _v_cmpx_eq_u64 dst, src0, src1=
   v_cmpx_eq_u64 \dst, \src0, \src1 
.endm

.macro _v_cmpx_le_i16 dst, src0, src1=
   v_cmpx_le_i16 \dst, \src0, \src1 
.endm

.macro _v_cmpx_le_i32 dst, src0, src1=
   v_cmpx_le_i32 \dst, \src0, \src1 
.endm

.macro _v_cmpx_le_i64 dst, src0, src1=
   v_cmpx_le_i64 \dst, \src0, \src1 
.endm

.macro _v_cmpx_le_u16 dst, src0, src1=
   v_cmpx_le_u16 \dst, \src0, \src1 
.endm

.macro _v_cmpx_le_u32 dst, src0, src1=
   v_cmpx_le_u32 \dst, \src0, \src1 
.endm

.macro _v_cmpx_le_u64 dst, src0, src1=
   v_cmpx_le_u64 \dst, \src0, \src1 
.endm

.macro _v_cmpx_gt_i16 dst, src0, src1=
   v_cmpx_gt_i16 \dst, \src0, \src1 
.endm

.macro _v_cmpx_gt_i32 dst, src0, src1=
   v_cmpx_gt_i32 \dst, \src0, \src1 
.endm

.macro _v_cmpx_gt_i64 dst, src0, src1=
   v_cmpx_gt_i64 \dst, \src0, \src1 
.endm

.macro _v_cmpx_gt_u16 dst, src0, src1=
   v_cmpx_gt_u16 \dst, \src0, \src1 
.endm

.macro _v_cmpx_gt_u32 dst, src0, src1=
   v_cmpx_gt_u32 \dst, \src0, \src1 
.endm

.macro _v_cmpx_gt_u64 dst, src0, src1=
   v_cmpx_gt_u64 \dst, \src0, \src1 
.endm

.macro _v_cmpx_ne_i16 dst, src0, src1=
   v_cmpx_ne_i16 \dst, \src0, \src1 
.endm

.macro _v_cmpx_ne_i32 dst, src0, src1=
   v_cmpx_ne_i32 \dst, \src0, \src1 
.endm

.macro _v_cmpx_ne_i64 dst, src0, src1=
   v_cmpx_ne_i64 \dst, \src0, \src1 
.endm

.macro _v_cmpx_ne_u16 dst, src0, src1=
   v_cmpx_ne_u16 \dst, \src0, \src1 
.endm

.macro _v_cmpx_ne_u32 dst, src0, src1=
   v_cmpx_ne_u32 \dst, \src0, \src1 
.endm

.macro _v_cmpx_ne_u64 dst, src0, src1=
   v_cmpx_ne_u64 \dst, \src0, \src1 
.endm

.macro _v_cmpx_lg_i16 dst, src0, src1=
   v_cmpx_lg_i16 \dst, \src0, \src1 
.endm

.macro _v_cmpx_lg_i32 dst, src0, src1=
   v_cmpx_lg_i32 \dst, \src0, \src1 
.endm

.macro _v_cmpx_lg_i64 dst, src0, src1=
   v_cmpx_lg_i64 \dst, \src0, \src1 
.endm

.macro _v_cmpx_lg_u16 dst, src0, src1=
   v_cmpx_lg_u16 \dst, \src0, \src1 
.endm

.macro _v_cmpx_lg_u32 dst, src0, src1=
   v_cmpx_lg_u32 \dst, \src0, \src1 
.endm

.macro _v_cmpx_lg_u64 dst, src0, src1=
   v_cmpx_lg_u64 \dst, \src0, \src1 
.endm

.macro _v_cmpx_ge_i16 dst, src0, src1=
   v_cmpx_ge_i16 \dst, \src0, \src1 
.endm

.macro _v_cmpx_ge_i32 dst, src0, src1=
   v_cmpx_ge_i32 \dst, \src0, \src1 
.endm

.macro _v_cmpx_ge_i64 dst, src0, src1=
   v_cmpx_ge_i64 \dst, \src0, \src1 
.endm

.macro _v_cmpx_ge_u16 dst, src0, src1=
   v_cmpx_ge_u16 \dst, \src0, \src1 
.endm

.macro _v_cmpx_ge_u32 dst, src0, src1=
   v_cmpx_ge_u32 \dst, \src0, \src1 
.endm

.macro _v_cmpx_ge_u64 dst, src0, src1=
   v_cmpx_ge_u64 \dst, \src0, \src1 
.endm

.macro _v_cmpx_o_i16 dst, src0, src1=
   v_cmpx_o_i16 \dst, \src0, \src1 
.endm

.macro _v_cmpx_o_i32 dst, src0, src1=
   v_cmpx_o_i32 \dst, \src0, \src1 
.endm

.macro _v_cmpx_o_i64 dst, src0, src1=
   v_cmpx_o_i64 \dst, \src0, \src1 
.endm

.macro _v_cmpx_o_u16 dst, src0, src1=
   v_cmpx_o_u16 \dst, \src0, \src1 
.endm

.macro _v_cmpx_o_u32 dst, src0, src1=
   v_cmpx_o_u32 \dst, \src0, \src1 
.endm

.macro _v_cmpx_o_u64 dst, src0, src1=
   v_cmpx_o_u64 \dst, \src0, \src1 
.endm

.macro _v_cmpx_u_i16 dst, src0, src1=
   v_cmpx_u_i16 \dst, \src0, \src1 
.endm

.macro _v_cmpx_u_i32 dst, src0, src1=
   v_cmpx_u_i32 \dst, \src0, \src1 
.endm

.macro _v_cmpx_u_i64 dst, src0, src1=
   v_cmpx_u_i64 \dst, \src0, \src1 
.endm

.macro _v_cmpx_u_u16 dst, src0, src1=
   v_cmpx_u_u16 \dst, \src0, \src1 
.endm

.macro _v_cmpx_u_u32 dst, src0, src1=
   v_cmpx_u_u32 \dst, \src0, \src1 
.endm

.macro _v_cmpx_u_u64 dst, src0, src1=
   v_cmpx_u_u64 \dst, \src0, \src1 
.endm
.macro _v_mac_f32 c:req, a:req, b:req
    v_fmac_f32 \c, \a, \b
.endmacro

/* scale global load macros */
.macro _s_load_b32 dst base offset
    s_load_dword \dst \base \offset
.endm

.macro _s_load_b64 dst base offset
    s_load_dwordx2 \dst \base \offset
.endm

.macro _s_load_b128 dst base offset
    s_load_dwordx4 \dst \base \offset
.endm

.macro _s_load_b256 dst base offset
    s_load_dwordx8 \dst \base \offset
.endm

.macro _s_load_b512 dst base offset
    s_load_dwordx16 \dst \base \offset
.endm


/* ds operation macros */
.macro _ds_load_u8 dst src offset
    ds_read_u8 \dst \src \offset
.endm

.macro _ds_load_u8_d16_hi dst src offset
    ds_read_u8_d16_hi \dst \src \offset
.endm

.macro _ds_load_u16 dst src offset
    ds_read_u16 \dst \src \offset
.endm

.macro _ds_load_u16_d16_hi dst src offset
    ds_read_u16_d16_hi \dst \src \offset
.endm

.macro _ds_load_b32 dst src offset
    ds_read_b32 \dst \src \offset
.endm

.macro _ds_load_b64 dst src offset
    ds_read_b64 \dst \src \offset
.endm

.macro _ds_load_b128 dst src offset
    ds_read_b128 \dst \src \offset
.endm

.macro _ds_store_b8 dst src offset
    ds_write_b8 \dst \src \offset
.endm

.macro _ds_store_b8_d16_hi dst src offset
    ds_write_b8_d16_hi \dst \src \offset
.endm

.macro _ds_store_b16 dst src offset
    ds_write_b16 \dst \src \offset
.endm

.macro _ds_store_b16_d16_hi dst src offset
    ds_write_b16_d16_hi \dst \src \offset
.endm

.macro _ds_store_b32 dst src offset
    ds_write_b32 \dst \src \offset
.endm

.macro _ds_store_b64 dst src offset
    ds_write_b64 \dst \src \offset
.endm

.macro _ds_store_b128 dst src offset
    ds_write_b128 \dst \src \offset
.endm

.macro _ds_load2_b32 dst src offset1 offset2
    ds_read2_b32 \dst \src \offset1 \offset2
.endm

.macro _ds_load2_b64 dst src offset1 offset2
    ds_read2_b64 \dst \src \offset1 \offset2
.endm

.macro _ds_store2_b32 dst src offset1 offset2
    ds_write2_b32 \dst \src \offset1 \offset2
.endm

.macro _ds_store2_b64 dst src offset1 offset2
    ds_write2_b64 \dst \src \offset1 \offset2
.endm


/* buffer memory operation macros */
.macro _buffer_load_b32 dst voffset base soffset offen ioffset md0 md1 md2
    buffer_load_dword \dst \voffset \base \soffset \offen \ioffset \md0 \md1 \md2
.endm

.macro _buffer_load_b64 dst voffset base soffset offen ioffset md0 md1 md2
    buffer_load_dwordx2 \dst \voffset \base \soffset \offen \ioffset \md0 \md1 \md2
.endm

.macro _buffer_load_b96 dst voffset base soffset offen ioffset md0 md1 md2
    buffer_load_dwordx3 \dst \voffset \base \soffset \offen \ioffset \md0 \md1 \md2
.endm

.macro _buffer_load_b128 dst voffset base soffset offen ioffset md0 md1 md2
    buffer_load_dwordx4 \dst \voffset \base \soffset \offen \ioffset \md0 \md1 \md2
.endm

.macro _buffer_load_d16_b16 dst voffset base soffset offen ioffset md0 md1 md2
    buffer_load_short_d16 \dst \voffset \base \soffset \offen \ioffset \md0 \md1 \md2
.endm

.macro _buffer_load_d16_hi_b16 dst voffset base soffset offen ioffset md0 md1 md2
    buffer_load_short_d16_hi \dst \voffset \base \soffset \offen \ioffset \md0 \md1 \md2
.endm

.macro _buffer_load_d16_u8 dst voffset base soffset offen ioffset md0 md1 md2
    buffer_load_ubyte_d16 \dst \voffset \base \soffset \offen \ioffset \md0 \md1 \md2
.endm

.macro _buffer_load_d16_hi_u8 dst voffset base soffset offen ioffset md0 md1 md2
    buffer_load_ubyte_d16_hi \dst \voffset \base \soffset \offen \ioffset \md0 \md1 \md2
.endm

.macro _buffer_load_u16 dst voffset base soffset offen ioffset md0 md1 md2
    buffer_load_ushort \dst \voffset \base \soffset \offen \ioffset \md0 \md1 \md2
.endm

.macro _buffer_load_b32_dtl voffset base soffset offen ioffset md0 md1 md2
    buffer_load_dword \voffset \base \soffset \offen \ioffset \md0 \md1 \md2
.endm

.macro _buffer_load_b64_dtl voffset base soffset offen ioffset md0 md1 md2
    buffer_load_dwordx2 \voffset \base \soffset \offen \ioffset \md0 \md1 \md2
.endm

.macro _buffer_load_b128_dtl voffset base soffset offen ioffset md0 md1 md2
    buffer_load_dwordx4 \voffset \base \soffset \offen \ioffset \md0 \md1 \md2
.endm

.macro _buffer_load_u16_dtl voffset base soffset offen ioffset md0 md1 md2
    buffer_load_ushort \voffset \base \soffset \offen \ioffset \md0 \md1 \md2
.endm

.macro _buffer_store_b32 src voffset base soffset offen ioffset md0 md1 md2
    buffer_store_dword \src \voffset \base \soffset \offen \ioffset \md0 \md1 \md2
.endm

.macro _buffer_store_b64 src voffset base soffset offen ioffset md0 md1 md2
    buffer_store_dwordx2 \src \voffset \base \soffset \offen \ioffset \md0 \md1 \md2
.endm

.macro _buffer_store_b96 src voffset base soffset offen ioffset md0 md1 md2
    buffer_store_dwordx3 \src \voffset \base \soffset \offen \ioffset \md0 \md1 \md2
.endm

.macro _buffer_store_b128 src voffset base soffset offen ioffset md0 md1 md2
    buffer_store_dwordx4 \src \voffset \base \soffset \offen \ioffset \md0 \md1 \md2
.endm

.macro _buffer_store_b16 src voffset base soffset offen ioffset md0 md1 md2
    buffer_store_short \src \voffset \base \soffset \offen \ioffset \md0 \md1 \md2
.endm

.macro _buffer_store_d16_hi_b16 src voffset base soffset offen ioffset md0 md1 md2
    buffer_store_short_d16_hi \src \voffset \base \soffset \offen \ioffset \md0 \md1 \md2
.endm

.macro _buffer_store_b8 src voffset base soffset offen ioffset md0 md1 md2
    buffer_store_byte \src \voffset \base \soffset \offen \ioffset \md0 \md1 \md2
.endm

.macro _buffer_store_d16_hi_b8 src voffset base soffset offen ioffset md0 md1 md2
    buffer_store_byte_d16_hi \src \voffset \base \soffset \offen \ioffset \md0 \md1 \md2
.endm

.macro _buffer_atomic_cmpswap_b32 dst voffset base soffset offen ioffset md0 md1 md2
    buffer_atomic_cmpswap \dst \voffset \base \soffset \offen \ioffset \md0 \md1 \md2
.endm

.macro _buffer_atomic_cmpswap_b64 dst voffset base soffset offen ioffset md0 md1 md2
    buffer_atomic_cmpswap_x2 \dst \voffset \base \soffset \offen \ioffset \md0 \md1 \md2
.endm


/* buffer memory operation macros */
.macro _global_load_b32 dst base src ioffset md0 md1 md2
    global_load_dword \dst \base \src \ioffset \md0 \md1 \md2
.endm

.macro _global_load_b64 dst base src ioffset md0 md1 md2
    global_load_dwordx2 \dst \base \src \ioffset \md0 \md1 \md2
.endm

.macro _global_load_b96 dst base src ioffset md0 md1 md2
    global_load_dwordx3 \dst \base \src \ioffset \md0 \md1 \md2
.endm

.macro _global_load_b128 dst base src ioffset md0 md1 md2
    global_load_dwordx4 \dst \base \src \ioffset \md0 \md1 \md2
.endm

.macro _global_load_d16_b16 dst base src ioffset md0 md1 md2
    global_load_short_d16 \dst \base \src \ioffset \md0 \md1 \md2
.endm

.macro _global_load_d16_hi_b16 dst base src ioffset md0 md1 md2
    global_load_short_d16_hi \dst \base \src \ioffset \md0 \md1 \md2
.endm

.macro _global_load_d16_u8 dst base src ioffset md0 md1 md2
    global_load_ubyte_d16 \dst \base \src \ioffset \md0 \md1 \md2
.endm

.macro _global_load_d16_hi_u8 dst base src ioffset md0 md1 md2
    global_load_ubyte_d16_hi \dst \base \src \ioffset \md0 \md1 \md2
.endm

.macro _global_load_u16 dst base src ioffset md0 md1 md2
    global_load_ushort \dst \base \src \ioffset \md0 \md1 \md2
.endm

.macro _global_store_b32 base src src2 md0 md1 md2
    global_store_dword \base \src \src2 \md0 \md1 \md2
.endm

.macro _global_store_b64 base src src2 md0 md1 md2
    global_store_dwordx2 \base \src \src2 \md0 \md1 \md2
.endm

.macro _global_store_b96 base src src2 md0 md1 md2
    global_store_dwordx3 \base \src \src2 \md0 \md1 \md2
.endm

.macro _global_store_b128 base src src2 md0 md1 md2
    global_store_dwordx4 \base \src \src2 \md0 \md1 \md2
.endm

.macro _global_store_d16_b16 base src src2 md0 md1 md2
    global_store_short \base \src \src2 \md0 \md1 \md2
.endm

.macro _global_store_d16_hi_b16 base src src2 md0 md1 md2
    global_store_short_d16_hi \base \src \src2 \md0 \md1 \md2
.endm

.macro _global_store_d16_u8 base src src2 md0 md1 md2
    global_store_ubyte_d16 \base \src \src2 \md0 \md1 \md2
.endm

.macro _global_store_d16_hi_u8 base src src2 md0 md1 md2
    global_store_ubyte_d16_hi \base \src \src2 \md0 \md1 \md2
.endm

.macro _global_store_u16 base src src2 md0 md1 md2
    global_store_ushort \base \src \src2 \md0 \md1 \md2
.endm

.macro _global_atomic_cmpswap_b32 tmp base data src ioffset md
    global_atomic_cmpswap \tmp \base \data \src \ioffset \md
.endm

.macro _global_atomic_cmpswap_b64 tmp base data src ioffset md
    global_atomic_cmpswap_x2 \tmp \base \data \src \ioffset \md
.endm


/******************************************/
/* Magic div and mod functions            */
/******************************************/
.macro V_MAGIC_DIV dstIdx:req, dividend:req, magicNumber:req, magicShift:req, magicA:req
    v_mul_hi_u32 v[\dstIdx+1], \dividend, \magicNumber
    v_mul_lo_u32 v[\dstIdx+0], \dividend, \magicA
    _v_add_u32 v[\dstIdx+0], v[\dstIdx+0], v[\dstIdx+1]
    v_lshrrev_b32 v[\dstIdx+0], \magicShift, v[\dstIdx+0]
.endm

/******************************************/
/* VGPR Assignments                       */
/******************************************/
/* ValuC range: [0-0), serializedStore enabled */
.set vgprValuC, 0
/* ValuA/B   Xn=PLR buffer idx,  In=InnerUnroll idx */
.set vgprValuA_X0_I0, 0
.set vgprValuA_X1_I0, 1
.set vgprG2LA, 38
.set vgprG2LB, 40
.set vgprG2LB0, 40
.set vgprG2LB1, 72
.set vgprLocalWriteAddrA, 2
.set vgprGlobalReadOffsetA, 3
.set vgprGlobalReadOffsetB, 5
.set vgprLocalReadAddrA, 104
.set vgprSerial, 105
/* Num VGPR=152 */
/* Num AccVGPR=16 */

/******************************************/
/* SGPR Assignments                       */
/******************************************/
.set sgprKernArgAddress, 0 // (2)
.set sgprWorkGroup0, 2 // (1)
.set sgprWorkGroup1, 3 // (1)
.set sgprWorkGroup2, 4 // (1)
.set sgprLoopCounterL, 5 // (1)
.set sgprOrigLoopCounter, 6 // (1)
.set sgprSrdA, 8 // (4)
.set sgprSrdB, 12 // (4)
.set sgprSrdD, 16 // (4)
.set sgprSrdC, 20 // (4)
.set sgprTensor2dSizeA, 24 // (2)
.set sgprTensor2dSizeB, 26 // (2)
.set sgprAddressD, 28 // (2)
.set sgprAddressC, 30 // (2)
.set sgprAddressA, 32 // (2)
.set sgprAddressB, 34 // (2)
.set sgprAlpha, 36 // (1)
.set sgprBeta, 37 // (1)
.set sgprStridesD, 38 // (2)
.set sgprStridesC, 40 // (2)
.set sgprStridesA, 42 // (2)
.set sgprStridesB, 44 // (2)
.set sgprSizesFree, 46 // (3)
.set sgprSizesSum, 49 // (1)
.set sgprOrigStaggerUIter, 50 // (1)
.set sgprNumWorkGroups0, 51 // (1)
.set sgprNumWorkGroups1, 52 // (1)
.set sgprNumFullBlocks, 53 // (1)
.set sgprWgmRemainder1, 54 // (1)
.set sgprMagicNumberWgmRemainder1, 55 // (1)
.set sgprShadowLimitA, 0 // (2)
.set sgprShadowLimitB, 28 // (2)
.set sgprStaggerUIter, 7 // (1)
.set sgprWrapUA, 30 // (2)
.set sgprWrapUB, 32 // (2)
.set sgprGlobalReadIncsA, 34 // (1)
.set sgprGlobalReadIncsB, 35 // (1)
/* max SGPR=63 */

/* Size Assignments */
.set sgprSizeI, sgprSizesFree+0
.set sgprSizeJ, sgprSizesFree+1
.set sgprSizeK, sgprSizesFree+2
.set sgprSizeL, sgprSizesSum+0

/* Stride Assignments */
.set constStrideD0I, 1
.set sgprStrideD1J, sgprStridesD+0
.set sgprStrideDK, sgprStridesD+1
.set constStrideC0I, 1
.set sgprStrideC1J, sgprStridesC+0
.set sgprStrideCK, sgprStridesC+1
.set constStrideA0I, 1
.set sgprStrideAL, sgprStridesA+0
.set sgprStrideAK, sgprStridesA+1
.set constStrideB1J, 1
.set sgprStrideBL, sgprStridesB+0
.set sgprStrideBK, sgprStridesB+1

.set MT0, 16
.set MT1, 256
.set DepthU, 32
.set GSU, 1
.set BpeA, 4
.set BpeALog2, 2
.set BpeB, 4
.set BpeBLog2, 2
/* Number of elements to shift-left SRD */
.set SrdShiftLeftA, 1
.set SrdShiftLeftB, 1
/* 2GB limit - set offsets to -1 to exceed this and clamp */
.set BufferLimitA, 0xffffffff
.set BufferLimitB, 0xffffffff
.set BufferOOB, 0xfffff000

/******************************************/
/* Bits 127:96 of SRD.                    */
/* hex: 0x00020000                        */
/* dst_sel_x (3b): 0                      */
/* dst_sel_y (3b): 0                      */
/* dst_sel_z (3b): 0                      */
/* dst_sel_w (3b): 0                      */
/* num_format (3b): 0                     */
/* data_format (4b): 4                    */
/* user_vm_enable (1b): 0                 */
/* user_vm_mode (1b): 0                   */
/* index_stride (2b): 0                   */
/* add_tid_enable (1b): 0                 */
/* _unusedA (3b): 0                       */
/* nv (1b): 0                             */
/* _unusedB (2b): 0                       */
/* type (2b): 0                           */
/******************************************/
.set Srd127_96, 0x00020000

/* Global Offset A */
.macro GLOBAL_OFFSET_A vgprAddr:req vgprOffset0I:req vgprOffsetL:req vgprTmp:req
v_mul_lo_u32 v[\vgprTmp+0], s[sgprStrideAL], v[\vgprOffsetL] // mul d1 lower
_v_add_co_u32 v[\vgprAddr+0], vcc, v[\vgprOffset0I], v[\vgprTmp+0] // accumulate K lower
_v_add_u32 v[\vgprAddr+0], 0x1, v[\vgprAddr+0]     // add prepad for pointer shift
v_lshlrev_b32 v[\vgprAddr+0], 0x2, v[\vgprAddr+0]  // offset *= bytes/element
.endm

/* Global Offset B */
.macro GLOBAL_OFFSET_B vgprAddr:req vgprOffset1J:req vgprOffsetL:req vgprTmp:req
v_mul_lo_u32 v[\vgprTmp+0], s[sgprStrideBL], v[\vgprOffsetL] // mul d1 lower
_v_add_co_u32 v[\vgprAddr+0], vcc, v[\vgprOffset1J], v[\vgprTmp+0] // accumulate K lower
_v_add_u32 v[\vgprAddr+0], 0x1, v[\vgprAddr+0]     // add prepad for pointer shift
v_lshlrev_b32 v[\vgprAddr+0], 0x2, v[\vgprAddr+0]  // offset *= bytes/element
.endm

/******************************************/
/* Dynamic Scalar Divide: vQuotient=vDividend/vDivisor; vRemainder=vDividend%vDivisor; */
/******************************************/
.macro DYNAMIC_VECTOR_DIVIDE vQuotient vRemainder vDividend vDivisor vTmp0 vTmp1 sTmp
v_cvt_f32_u32 v[\vQuotient], v[\vDivisor]          // 
v_rcp_f32 v[\vQuotient], v[\vQuotient]             // 
v_mul_f32 v[\vQuotient], 0x4f800000, v[\vQuotient] // 
v_cvt_u32_f32 v[\vQuotient], v[\vQuotient]         // 
v_mul_lo_u32 v[\vRemainder], v[\vDivisor], v[\vQuotient] // 
v_mul_hi_u32 v[\vTmp0], v[\vDivisor], v[\vQuotient] // 
_v_sub_co_u32 v[\vTmp1], vcc, 0x0, v[\vRemainder]  // 
v_cmp_ne_i32 s[\sTmp:\sTmp+1], 0x0, v[\vTmp0]      // 
v_cndmask_b32 v[\vRemainder], v[\vTmp1], v[\vRemainder], s[\sTmp:\sTmp+1] // 
v_mul_hi_u32 v[\vRemainder], v[\vRemainder], v[\vQuotient] // 
_v_sub_co_u32 v[\vTmp0], vcc, v[\vQuotient], v[\vRemainder] // 
_v_add_co_u32 v[\vQuotient], vcc, v[\vQuotient], v[\vRemainder] // 
v_cndmask_b32 v[\vQuotient], v[\vQuotient], v[\vTmp0], s[\sTmp:\sTmp+1] // 
v_mul_hi_u32 v[\vQuotient], v[\vQuotient], v[\vDividend] // 
v_mul_lo_u32 v[\vRemainder], v[\vQuotient], v[\vDivisor] // 
_v_sub_co_u32 v[\vTmp0], vcc, v[\vDividend], v[\vRemainder] // 
v_cmp_ge_u32 s[\sTmp:\sTmp+1], v[\vDividend], v[\vRemainder] // 
_v_add_co_u32 v[\vRemainder], vcc, 0x1, v[\vQuotient] // 
_v_add_co_u32 v[\vTmp1], vcc, -1, v[\vQuotient]    // 
v_cmp_le_u32 vcc, v[\vDivisor], v[\vTmp0]          // 
s_and_b64 vcc, s[\sTmp:\sTmp+1], vcc               // 
v_cndmask_b32 v[\vQuotient], v[\vQuotient], v[\vRemainder], vcc // 
v_cndmask_b32 v[\vQuotient], v[\vTmp1], v[\vQuotient], s[\sTmp:\sTmp+1] // 
v_cmp_ne_i32 vcc, 0x0, v[\vDivisor]                // 
v_cndmask_b32 v[\vQuotient], -1, v[\vQuotient], vcc // final result
v_mul_lo_u32 v[\vRemainder], v[\vQuotient], v[\vDivisor] // 
_v_sub_co_u32 v[\vRemainder], vcc, v[\vDividend], v[\vRemainder] // final result
.endm


	;; [unrolled: 1-line block ×3, first 2 shown]
/******************************************/
/* Allocate Resources                     */
/******************************************/

Cijk_Ailk_Bjlk_SB_MT16x256x32_MI16x16x1x4_SN_1LDSB0_APM1_AF0EM1_AF1EM1_AMAS0_ASGT_ASLT033_333_ASEM1_BL1_BS1_CLR0_DTVA0_DTVB1_ETSP_EPS1_ELFLR0_EMLL0_FSSC10_FL0_GLVWA1_GLVWB1_GRCGA1_GRCGB1_GRVWn1_GSU1_GSUASB_GLS0_IU1_K1_LBSPPA0_LBSPPB0_LPA16_LPB0_LRVW1_MIAV0_MKFGSU256_NTA0_NTB0_NTC0_NTD0_NEPBS0_NLCA1_NLCB1_ONLL1_PK0_PGR2_PLR1_PKA0_SIA3_SS0_SU32_SUM0_SUS256_SPO0_SRVW0_SSO0_SVW4_TSGRA0_TSGRB0_TT1_16_TLDS0_UMLDSA0_UMLDSB0_USFGROn1_VAW1_VSn1_VW1_VWB1_VFLRP0_WSGRA0_WSGRB0_WG16_16_1_WGM12_preloaded: // Kernel start when preloading

/* Load Kernel Args */
_s_load_b512 s[24:39], s[sgprKernArgAddress:sgprKernArgAddress+1], 0x0 // 
_s_load_b512 s[40:55], s[sgprKernArgAddress:sgprKernArgAddress+1], 0x40 // 
s_mov_b32 m0, 0x2000                               // LDS clamp at 8192 bytes
v_mov_b32 v[vgprSerial], v0                        // thread serial id

/******************************************/
/* Local Read Addresses                   */
/******************************************/


/* local read addresses: tile assignments a/b */

/*lr0I*/
v_and_b32 v1, 63, v[vgprSerial]                    // 0. thread id in wave: wtid = tid % wavelength(64)
v_and_b32 v0, 15, v1                               // 1. N offset: nIdx = wtid % MI_N(16)
                                                   // 1. N offset: nOffset = nIdx * nStride(1) (multiplier is 1, do nothing)
                                                   // 2. block offset: bnIdx = bnIdx % num1DBlocks(1) is 0. do nothing
                                                   // 4. apply VectorWidth: bnOffset = bnOffset * vw(1) (multiplier is 1, do nothing)


/* local read addresses: final offsets a */

v_lshlrev_b32 v[vgprLocalReadAddrA], 0x2, v0       // Final Offset: offset = (lro0)*bpe


/* local read addresses: final offsets b */


	;; [unrolled: 1-line block ×3, first 2 shown]
/* local read addresses: declare addresses a */

/* N/A */


/* local read addresses: declare addresses b */


	;; [unrolled: 1-line block ×3, first 2 shown]
/* global read addresses: tile offset assignment a */

/* LVCA = 16 */
/* v0 = (local)groA-tile = serial%LVCA (note (wgA*MTA) will be added to SRD) */
/* v1 = groA-unroll = serial/LVCA */
v_lshrrev_b32 v1, 4, v[vgprSerial]                 // v1 = v[vgprSerial] / 16
v_and_b32 v0, 15, v[vgprSerial]                    // v0 = v[vgprSerial] % 16
/* gro-tile *= glvw */
                                                   // v0 = v0 * 1 (multiplier is 1, do nothing)


/* global read addresses: tile offset assignment b */

/* LVCB = 256 */
/* v106 = (local)groB-tile = serial%LVCB (note (wgB*MTB) will be added to SRD) */
/* v107 = groB-unroll = serial/LVCB */
v_and_b32 v107, 63, v[vgprSerial]                  // 0. thread id in wave: wtid = tid % wavelength(64)
v_and_b32 v106, 15, v107                           // 1. N offset: nIdx = wtid % MI_N(16)
                                                   // 1. N offset: nOffset = nIdx * nStride(1) (multiplier is 1, do nothing)
v_lshrrev_b32 v108, 4, v107                        // 2. block offset: bnIdx = wtid / dividedForBlkId(16)
v_and_b32 v108, 3, v108                            // 2. block offset: bnIdx = bnIdx % num1DBlocks(4)
v_lshlrev_b32 v108, 0x4, v108                      // 2. block offset: bnOffset = bnIdx * strideBlock(16)
_v_add_u32 v106, v108, v106                        // 3. add N and block offset: bnOffset = block and N offset
                                                   // 4. apply VectorWidth: bnOffset = bnOffset * vw(1) (multiplier is 1, do nothing)
v_lshrrev_b32 v107, 6, v107                        // 5. K offset: kIdx = wtid / (MIN(16) * MIBB(4))
v_lshrrev_b32 v109, 6, v[vgprSerial]               // v109 = v[vgprSerial] / 64
v_and_b32 v108, 3, v109                            // v108 = v109 % 4
v_lshlrev_b32 v108, 0x6, v108                      // v108 = v108 * 64
_v_add_u32 v106, v108, v106                        // 
                                                   // v107 = v107 * 1 (multiplier is 1, do nothing)
/* gro-tile *= glvw */
                                                   // v106 = v106 * 1 (multiplier is 1, do nothing)


/******************************************/
/* Local Write Addresses                  */
/******************************************/

/* lwaTileAssignmentA = v0 */

/* lwaTileAssignmentB = v106 */

/* lwaUnrollAssignmentA = v1 */

/* lwaUnrollAssignmentB = v107 */


/* local write addresses: first offset a */

v_mul_u32_u24 v[vgprLocalWriteAddrA], 0x20, v1     // lwAL**(MTA + PAD)
_v_add_lshl_u32 v[vgprLocalWriteAddrA], v0, v[vgprLocalWriteAddrA], 0x2 // lwFOA = (lwAA + lwAL*(MT0I+PAD))*bpe


/* local write addresses: first offset b */


	;; [unrolled: 1-line block ×8, first 2 shown]
s_waitcnt lgkmcnt(0)                               // wait for 128 bytes of kern args
s_mov_b64 s[sgprSrdC+0:sgprSrdC+0+1], s[sgprAddressC+0:sgprAddressC+0+1] // copy addressC
s_mov_b64 s[sgprSrdD+0:sgprSrdD+0+1], s[sgprAddressD+0:sgprAddressD+0+1] // copy addressD
s_sub_u32 s[sgprSrdA+0], s[sgprAddressA+0], 4      // pre-pad to make room for possible pointer shift
s_subb_u32 s[sgprSrdA+1], s[sgprAddressA+1], 0     // pre-pad to make room for possible pointer shift
s_sub_u32 s[sgprSrdB+0], s[sgprAddressB+0], 4      // pre-pad to make room for possible pointer shift
s_subb_u32 s[sgprSrdB+1], s[sgprAddressB+1], 0     // pre-pad to make room for possible pointer shift

.set AddressD, UNDEF
.set AddressC, UNDEF
.set AddressA, UNDEF
.set AddressB, UNDEF

/* Short circuit condition if Alpha == 0, then sumDims=0 */
v_cmp_eq_f32 vcc, s[sgprAlpha], 0.0                // Alpha == 0.0f ?
s_cbranch_vccz label_AlphaNonZero                  // branch if alpha != 0
s_mov_b32 s[sgprSizesSum+0], 0x0                   // Set summation dim=0 if Alpha == 0
label_AlphaNonZero:


	;; [unrolled: 1-line block ×3, first 2 shown]
/******************************************/
/* Begin setupNewTile, isPap=False           */
/******************************************/


/* global read addresses: work-group */

/* graWorkGroup mapping */
s_mov_b32 s61, 0xaaaaaabL                          // magic number for WGM==12
s_mul_hi_u32 s59, s[sgprWorkGroup1], s61           // s_magic mul
s_mul_i32 s58, s[sgprWorkGroup1], s61              // s_magic mul
s_lshr_b64 s[58:59], s[58:59], 31                  // sMagicDiv
s_mul_i32 s59, s58, 12                             // quotient * non-magic divisor
s_sub_u32 s59, s[sgprWorkGroup1], s59              // WorkGroup1=remainder
s_mul_i32 s59, s59, s[sgprNumWorkGroups0]          // (wg1 % WGM)*nwg0
s_add_u32 s59, s59, s[sgprWorkGroup0]              // wgSerial = wg0 + (wg1 % WGM)*nwg1
s_cmp_ge_u32 s58, s[sgprNumFullBlocks]             // blockId >= numFullBlocks ?
s_cmov_b32 s61, s[sgprMagicNumberWgmRemainder1]    // 
s_cselect_b32 s60, s[sgprWgmRemainder1], 12        // 
s_mul_hi_u32 s3, s59, s61                          // s_magic mul
s_mul_i32 s2, s59, s61                             // s_magic mul
s_lshr_b64 s[2:3], s[2:3], 31                      // sMagicDiv
s_mul_i32 s[sgprWorkGroup1], s[sgprWorkGroup0], s60 // quotient * non-magic divisor
s_sub_u32 s[sgprWorkGroup1], s59, s[sgprWorkGroup1] // WorkGroup1=remainder
s_mul_i32 s58, s58, 12                             // blockId * WGM
s_add_u32 s[sgprWorkGroup1], s[sgprWorkGroup1], s58 // wg1 += blockId * WGM


/* global read addresses: unroll assignment a */

/* v1 */


/* global read addresses: unroll assignment b */

/* v107 */


/* global read addresses: other free assignments */

/* s[sgprWorkGroup2] */


/* global read addresses: tile offsets a */

v_mov_b32 v108, v0                                 // groA0I_0


/* global read addresses: tile offsets b */

v_mov_b32 v109, v106                               // groB1J_0


/* global read addresses: unroll offsets a */

v_mov_b32 v110, v1                                 // groAL_0
_v_add_co_u32 v111, vcc, 16, v110                  // groAL_1 + LSPA


/* global read addresses: unroll offsets b */

v_mov_b32 v112, v107                               // groBL_0
_v_add_co_u32 v113, vcc, 1, v112                   // groBL_1 + LSPB
_v_add_co_u32 v114, vcc, 1, v113                   // groBL_2 + LSPB
_v_add_co_u32 v115, vcc, 1, v114                   // groBL_3 + LSPB
_v_add_co_u32 v116, vcc, 1, v115                   // groBL_4 + LSPB
_v_add_co_u32 v117, vcc, 1, v116                   // groBL_5 + LSPB
_v_add_co_u32 v118, vcc, 1, v117                   // groBL_6 + LSPB
_v_add_co_u32 v119, vcc, 1, v118                   // groBL_7 + LSPB
_v_add_co_u32 v120, vcc, 1, v119                   // groBL_8 + LSPB
_v_add_co_u32 v121, vcc, 1, v120                   // groBL_9 + LSPB
_v_add_co_u32 v122, vcc, 1, v121                   // groBL_10 + LSPB
_v_add_co_u32 v123, vcc, 1, v122                   // groBL_11 + LSPB
_v_add_co_u32 v124, vcc, 1, v123                   // groBL_12 + LSPB
_v_add_co_u32 v125, vcc, 1, v124                   // groBL_13 + LSPB
_v_add_co_u32 v126, vcc, 1, v125                   // groBL_14 + LSPB
_v_add_co_u32 v127, vcc, 1, v126                   // groBL_15 + LSPB
_v_add_co_u32 v128, vcc, 1, v127                   // groBL_16 + LSPB
_v_add_co_u32 v129, vcc, 1, v128                   // groBL_17 + LSPB
_v_add_co_u32 v130, vcc, 1, v129                   // groBL_18 + LSPB
_v_add_co_u32 v131, vcc, 1, v130                   // groBL_19 + LSPB
_v_add_co_u32 v132, vcc, 1, v131                   // groBL_20 + LSPB
_v_add_co_u32 v133, vcc, 1, v132                   // groBL_21 + LSPB
_v_add_co_u32 v134, vcc, 1, v133                   // groBL_22 + LSPB
_v_add_co_u32 v135, vcc, 1, v134                   // groBL_23 + LSPB
_v_add_co_u32 v136, vcc, 1, v135                   // groBL_24 + LSPB
_v_add_co_u32 v137, vcc, 1, v136                   // groBL_25 + LSPB
_v_add_co_u32 v138, vcc, 1, v137                   // groBL_26 + LSPB
_v_add_co_u32 v139, vcc, 1, v138                   // groBL_27 + LSPB
_v_add_co_u32 v140, vcc, 1, v139                   // groBL_28 + LSPB
_v_add_co_u32 v141, vcc, 1, v140                   // groBL_29 + LSPB
_v_add_co_u32 v142, vcc, 1, v141                   // groBL_30 + LSPB
_v_add_co_u32 v143, vcc, 1, v142                   // groBL_31 + LSPB


/* global read addresses: final offsets a */

GLOBAL_OFFSET_A vgprGlobalReadOffsetA+0, 108, 110, 144 // gROA_0_0_0_0
GLOBAL_OFFSET_A vgprGlobalReadOffsetA+1, 108, 111, 144 // gROA_0_0_1_0


/* global read addresses: final offsets b */

GLOBAL_OFFSET_B vgprGlobalReadOffsetB+0, 109, 112, 144 // gROB_0_0_0_0
GLOBAL_OFFSET_B vgprGlobalReadOffsetB+1, 109, 113, 144 // gROB_0_0_1_0
GLOBAL_OFFSET_B vgprGlobalReadOffsetB+2, 109, 114, 144 // gROB_0_0_2_0
GLOBAL_OFFSET_B vgprGlobalReadOffsetB+3, 109, 115, 144 // gROB_0_0_3_0
GLOBAL_OFFSET_B vgprGlobalReadOffsetB+4, 109, 116, 144 // gROB_0_0_4_0
GLOBAL_OFFSET_B vgprGlobalReadOffsetB+5, 109, 117, 144 // gROB_0_0_5_0
GLOBAL_OFFSET_B vgprGlobalReadOffsetB+6, 109, 118, 144 // gROB_0_0_6_0
GLOBAL_OFFSET_B vgprGlobalReadOffsetB+7, 109, 119, 144 // gROB_0_0_7_0
GLOBAL_OFFSET_B vgprGlobalReadOffsetB+8, 109, 120, 144 // gROB_0_0_8_0
GLOBAL_OFFSET_B vgprGlobalReadOffsetB+9, 109, 121, 144 // gROB_0_0_9_0
GLOBAL_OFFSET_B vgprGlobalReadOffsetB+10, 109, 122, 144 // gROB_0_0_10_0
GLOBAL_OFFSET_B vgprGlobalReadOffsetB+11, 109, 123, 144 // gROB_0_0_11_0
GLOBAL_OFFSET_B vgprGlobalReadOffsetB+12, 109, 124, 144 // gROB_0_0_12_0
GLOBAL_OFFSET_B vgprGlobalReadOffsetB+13, 109, 125, 144 // gROB_0_0_13_0
GLOBAL_OFFSET_B vgprGlobalReadOffsetB+14, 109, 126, 144 // gROB_0_0_14_0
GLOBAL_OFFSET_B vgprGlobalReadOffsetB+15, 109, 127, 144 // gROB_0_0_15_0
GLOBAL_OFFSET_B vgprGlobalReadOffsetB+16, 109, 128, 144 // gROB_0_0_16_0
GLOBAL_OFFSET_B vgprGlobalReadOffsetB+17, 109, 129, 144 // gROB_0_0_17_0
GLOBAL_OFFSET_B vgprGlobalReadOffsetB+18, 109, 130, 144 // gROB_0_0_18_0
GLOBAL_OFFSET_B vgprGlobalReadOffsetB+19, 109, 131, 144 // gROB_0_0_19_0
GLOBAL_OFFSET_B vgprGlobalReadOffsetB+20, 109, 132, 144 // gROB_0_0_20_0
GLOBAL_OFFSET_B vgprGlobalReadOffsetB+21, 109, 133, 144 // gROB_0_0_21_0
GLOBAL_OFFSET_B vgprGlobalReadOffsetB+22, 109, 134, 144 // gROB_0_0_22_0
GLOBAL_OFFSET_B vgprGlobalReadOffsetB+23, 109, 135, 144 // gROB_0_0_23_0
GLOBAL_OFFSET_B vgprGlobalReadOffsetB+24, 109, 136, 144 // gROB_0_0_24_0
GLOBAL_OFFSET_B vgprGlobalReadOffsetB+25, 109, 137, 144 // gROB_0_0_25_0
GLOBAL_OFFSET_B vgprGlobalReadOffsetB+26, 109, 138, 144 // gROB_0_0_26_0
GLOBAL_OFFSET_B vgprGlobalReadOffsetB+27, 109, 139, 144 // gROB_0_0_27_0
GLOBAL_OFFSET_B vgprGlobalReadOffsetB+28, 109, 140, 144 // gROB_0_0_28_0
GLOBAL_OFFSET_B vgprGlobalReadOffsetB+29, 109, 141, 144 // gROB_0_0_29_0
GLOBAL_OFFSET_B vgprGlobalReadOffsetB+30, 109, 142, 144 // gROB_0_0_30_0
GLOBAL_OFFSET_B vgprGlobalReadOffsetB+31, 109, 143, 144 // gROB_0_0_31_0


/* global read addresses: addresses a */

/* max read offset = size[n] * stride[n-1] */
s_mul_hi_u32 s61, s[sgprWorkGroup0], 16            // WorkGroup[01] * MT
s_mul_i32 s60, s[sgprWorkGroup0], 16               // WorkGroup[01] * MT
s_sub_u32 s[sgprShadowLimitA+0], s[sgprTensor2dSizeA], s60 // sub tileStart
s_subb_u32 s[sgprShadowLimitA+1], s[sgprTensor2dSizeA+1], s61 // sub tileStart
s_lshl_b64 s[sgprShadowLimitA:sgprShadowLimitA+1], s[sgprShadowLimitA:sgprShadowLimitA+1], 0x2 // Set limit to use bytes
s_add_u32 s[sgprShadowLimitA+0], s[sgprShadowLimitA+0], 4 // extend limit for pre-pad
s_addc_u32 s[sgprShadowLimitA+1], s[sgprShadowLimitA+1], 0 // extend limit for pre-pad
s_cmp_eq_u32 s[sgprShadowLimitA+1], 0              // are we within 2^32?
s_cselect_b32 s[sgprSrdA+2], s[sgprShadowLimitA+0], BufferLimitA // Move shadow to real if we are within 2^32
s_mul_hi_u32 s59, s[sgprStrideAK], s[sgprWorkGroup2] // Stride*WG
s_mul_i32 s58, s[sgprStrideAK], s[sgprWorkGroup2]  // Stride*WG
s_add_u32 s60, s60, s58                            // accum wg term to tilestart
s_addc_u32 s61, s61, s59                           // accum wg term to tilestart
s_lshl_b64 s[60:61], s[60:61], 0x2                 // tileStart *= BPE
s_add_u32 s[sgprSrdA+0], s[sgprSrdA+0], s60        // SRD base = Address+ tileStart0
s_addc_u32 s[sgprSrdA+1], s[sgprSrdA+1], s61       // SRD base = Address+ tileStart1
s_mov_b32 s[sgprSrdA+3], Srd127_96                 // Set bits 127_96 in SRD


/* global read addresses: addresses b */

/* max read offset = size[n] * stride[n-1] */
s_mul_hi_u32 s61, s[sgprWorkGroup1], 256           // WorkGroup[01] * MT
s_mul_i32 s60, s[sgprWorkGroup1], 256              // WorkGroup[01] * MT
s_sub_u32 s[sgprShadowLimitB+0], s[sgprTensor2dSizeB], s60 // sub tileStart
s_subb_u32 s[sgprShadowLimitB+1], s[sgprTensor2dSizeB+1], s61 // sub tileStart
s_lshl_b64 s[sgprShadowLimitB:sgprShadowLimitB+1], s[sgprShadowLimitB:sgprShadowLimitB+1], 0x2 // Set limit to use bytes
s_add_u32 s[sgprShadowLimitB+0], s[sgprShadowLimitB+0], 4 // extend limit for pre-pad
s_addc_u32 s[sgprShadowLimitB+1], s[sgprShadowLimitB+1], 0 // extend limit for pre-pad
s_cmp_eq_u32 s[sgprShadowLimitB+1], 0              // are we within 2^32?
s_cselect_b32 s[sgprSrdB+2], s[sgprShadowLimitB+0], BufferLimitB // Move shadow to real if we are within 2^32
s_mul_hi_u32 s59, s[sgprStrideBK], s[sgprWorkGroup2] // Stride*WG
s_mul_i32 s58, s[sgprStrideBK], s[sgprWorkGroup2]  // Stride*WG
s_add_u32 s60, s60, s58                            // accum wg term to tilestart
s_addc_u32 s61, s61, s59                           // accum wg term to tilestart
s_lshl_b64 s[60:61], s[60:61], 0x2                 // tileStart *= BPE
s_add_u32 s[sgprSrdB+0], s[sgprSrdB+0], s60        // SRD base = Address+ tileStart0
s_addc_u32 s[sgprSrdB+1], s[sgprSrdB+1], s61       // SRD base = Address+ tileStart1
s_mov_b32 s[sgprSrdB+3], Srd127_96                 // Set bits 127_96 in SRD


/* global read addresses: increments a */

s_mul_i32 s[sgprGlobalReadIncsA+0], DepthU*BpeA, s[sgprStrideAL] // incrA unrollIdx)


/* global read addresses: increments b */

s_mul_i32 s[sgprGlobalReadIncsB+0], DepthU*BpeB, s[sgprStrideBL] // incrB unrollIdx)

/* declare loop num iterations */


s_lshr_b32 s[sgprLoopCounterL], s[sgprSizesSum+0], 5 // s[sgprLoopCounterL] = s[sgprSizesSum+0] / 32
s_mov_b32 s[sgprOrigLoopCounter], s[sgprLoopCounterL] // copy loop counter

s_and_b32 s[sgprStaggerUIter], s[sgprOrigStaggerUIter], s[sgprWorkGroup0] // Compute actual stagger start for this tile
s_lshl_b32 s[sgprStaggerUIter], s[sgprStaggerUIter], 1 // shift by StaggerUStride


/* SRDs += (StaggerUIter) * GlobalReadIncsA+0 */
s_mul_hi_u32 s59, s[sgprStaggerUIter], s[sgprGlobalReadIncsA+0] //  stagger byte offset
s_mul_i32 s58, s[sgprStaggerUIter], s[sgprGlobalReadIncsA+0] //  stagger byte offset
s_mul_hi_u32 s[sgprWrapUA+1], s[sgprLoopCounterL], s[sgprGlobalReadIncsA+0] // Number of bytes accessed by the unroll loop
s_mul_i32 s[sgprWrapUA+0], s[sgprLoopCounterL], s[sgprGlobalReadIncsA+0] // Number of bytes accessed by the unroll loop
s_sub_u32 s[sgprWrapUA+0], s[sgprGlobalReadIncsA+0], s[sgprWrapUA+0] // remove one iteration
s_subb_u32 s[sgprWrapUA+1], 0, s[sgprWrapUA+1]     // remove one iteration
s_add_u32 s[sgprSrdA+0], s[sgprSrdA+0], s58        // gra SRD += inc(lower)
s_addc_u32  s[sgprSrdA+1], s[sgprSrdA+1], s59      // gra SRD += inc(upper)
s_sub_u32 s[sgprShadowLimitA+0], s[sgprShadowLimitA+0], s58 // limit -= inc)
s_subb_u32 s[sgprShadowLimitA+1], s[sgprShadowLimitA+1], s59 // limit -= inc)
s_cmp_eq_u32 s[sgprShadowLimitA+1], 0              // are we within 2^32?
s_cselect_b32 s[sgprSrdA+2], s[sgprShadowLimitA+0], BufferLimitA // Move shadow to real if we are within 2^32


/* SRDs += (StaggerUIter) * GlobalReadIncsB+0 */
s_mul_hi_u32 s59, s[sgprStaggerUIter], s[sgprGlobalReadIncsB+0] //  stagger byte offset
s_mul_i32 s58, s[sgprStaggerUIter], s[sgprGlobalReadIncsB+0] //  stagger byte offset
s_mul_hi_u32 s[sgprWrapUB+1], s[sgprLoopCounterL], s[sgprGlobalReadIncsB+0] // Number of bytes accessed by the unroll loop
s_mul_i32 s[sgprWrapUB+0], s[sgprLoopCounterL], s[sgprGlobalReadIncsB+0] // Number of bytes accessed by the unroll loop
s_sub_u32 s[sgprWrapUB+0], s[sgprGlobalReadIncsB+0], s[sgprWrapUB+0] // remove one iteration
s_subb_u32 s[sgprWrapUB+1], 0, s[sgprWrapUB+1]     // remove one iteration
s_add_u32 s[sgprSrdB+0], s[sgprSrdB+0], s58        // gra SRD += inc(lower)
s_addc_u32  s[sgprSrdB+1], s[sgprSrdB+1], s59      // gra SRD += inc(upper)
s_sub_u32 s[sgprShadowLimitB+0], s[sgprShadowLimitB+0], s58 // limit -= inc)
s_subb_u32 s[sgprShadowLimitB+1], s[sgprShadowLimitB+1], s59 // limit -= inc)
s_cmp_eq_u32 s[sgprShadowLimitB+1], 0              // are we within 2^32?
s_cselect_b32 s[sgprSrdB+2], s[sgprShadowLimitB+0], BufferLimitB // Move shadow to real if we are within 2^32
s_add_u32 s[sgprStaggerUIter], s[sgprStaggerUIter], 2 // Subtract (PGR-1); StaggerUIter now contains target iteration to wrap

/* local read addresses: init pointers a */


/* localReadInitPointers */

/* local read addresses: init pointers b */


	;; [unrolled: 1-line block ×3, first 2 shown]
/* prefetch: global -> local */

s_cmp_eq_u32 s[sgprLoopCounterL], 0                // at last iteration?
s_cbranch_scc1 ShadowInitStart_10                  // skip to ShadowInitStart iter b/c numIter==0


_buffer_load_b32 v[vgprG2LA+0], v[vgprGlobalReadOffsetA+0], s[sgprSrdA:sgprSrdA+3], 0, offen offset:0 // G -> Reg 0_0_0_0
_buffer_load_b32 v[vgprG2LA+1], v[vgprGlobalReadOffsetA+1], s[sgprSrdA:sgprSrdA+3], 0, offen offset:0 // G -> Reg 0_0_1_0


_buffer_load_b32 v[vgprG2LB0+0], v[vgprGlobalReadOffsetB+0], s[sgprSrdB:sgprSrdB+3], 0, offen offset:0 // G -> Reg 0_0_0_0
_buffer_load_b32 v[vgprG2LB0+1], v[vgprGlobalReadOffsetB+1], s[sgprSrdB:sgprSrdB+3], 0, offen offset:0 // G -> Reg 0_0_1_0
_buffer_load_b32 v[vgprG2LB0+2], v[vgprGlobalReadOffsetB+2], s[sgprSrdB:sgprSrdB+3], 0, offen offset:0 // G -> Reg 0_0_2_0
_buffer_load_b32 v[vgprG2LB0+3], v[vgprGlobalReadOffsetB+3], s[sgprSrdB:sgprSrdB+3], 0, offen offset:0 // G -> Reg 0_0_3_0
_buffer_load_b32 v[vgprG2LB0+4], v[vgprGlobalReadOffsetB+4], s[sgprSrdB:sgprSrdB+3], 0, offen offset:0 // G -> Reg 0_0_4_0
_buffer_load_b32 v[vgprG2LB0+5], v[vgprGlobalReadOffsetB+5], s[sgprSrdB:sgprSrdB+3], 0, offen offset:0 // G -> Reg 0_0_5_0
_buffer_load_b32 v[vgprG2LB0+6], v[vgprGlobalReadOffsetB+6], s[sgprSrdB:sgprSrdB+3], 0, offen offset:0 // G -> Reg 0_0_6_0
_buffer_load_b32 v[vgprG2LB0+7], v[vgprGlobalReadOffsetB+7], s[sgprSrdB:sgprSrdB+3], 0, offen offset:0 // G -> Reg 0_0_7_0
_buffer_load_b32 v[vgprG2LB0+8], v[vgprGlobalReadOffsetB+8], s[sgprSrdB:sgprSrdB+3], 0, offen offset:0 // G -> Reg 0_0_8_0
_buffer_load_b32 v[vgprG2LB0+9], v[vgprGlobalReadOffsetB+9], s[sgprSrdB:sgprSrdB+3], 0, offen offset:0 // G -> Reg 0_0_9_0
_buffer_load_b32 v[vgprG2LB0+10], v[vgprGlobalReadOffsetB+10], s[sgprSrdB:sgprSrdB+3], 0, offen offset:0 // G -> Reg 0_0_10_0
_buffer_load_b32 v[vgprG2LB0+11], v[vgprGlobalReadOffsetB+11], s[sgprSrdB:sgprSrdB+3], 0, offen offset:0 // G -> Reg 0_0_11_0
_buffer_load_b32 v[vgprG2LB0+12], v[vgprGlobalReadOffsetB+12], s[sgprSrdB:sgprSrdB+3], 0, offen offset:0 // G -> Reg 0_0_12_0
_buffer_load_b32 v[vgprG2LB0+13], v[vgprGlobalReadOffsetB+13], s[sgprSrdB:sgprSrdB+3], 0, offen offset:0 // G -> Reg 0_0_13_0
_buffer_load_b32 v[vgprG2LB0+14], v[vgprGlobalReadOffsetB+14], s[sgprSrdB:sgprSrdB+3], 0, offen offset:0 // G -> Reg 0_0_14_0
_buffer_load_b32 v[vgprG2LB0+15], v[vgprGlobalReadOffsetB+15], s[sgprSrdB:sgprSrdB+3], 0, offen offset:0 // G -> Reg 0_0_15_0
_buffer_load_b32 v[vgprG2LB0+16], v[vgprGlobalReadOffsetB+16], s[sgprSrdB:sgprSrdB+3], 0, offen offset:0 // G -> Reg 0_0_16_0
_buffer_load_b32 v[vgprG2LB0+17], v[vgprGlobalReadOffsetB+17], s[sgprSrdB:sgprSrdB+3], 0, offen offset:0 // G -> Reg 0_0_17_0
_buffer_load_b32 v[vgprG2LB0+18], v[vgprGlobalReadOffsetB+18], s[sgprSrdB:sgprSrdB+3], 0, offen offset:0 // G -> Reg 0_0_18_0
_buffer_load_b32 v[vgprG2LB0+19], v[vgprGlobalReadOffsetB+19], s[sgprSrdB:sgprSrdB+3], 0, offen offset:0 // G -> Reg 0_0_19_0
_buffer_load_b32 v[vgprG2LB0+20], v[vgprGlobalReadOffsetB+20], s[sgprSrdB:sgprSrdB+3], 0, offen offset:0 // G -> Reg 0_0_20_0
_buffer_load_b32 v[vgprG2LB0+21], v[vgprGlobalReadOffsetB+21], s[sgprSrdB:sgprSrdB+3], 0, offen offset:0 // G -> Reg 0_0_21_0
_buffer_load_b32 v[vgprG2LB0+22], v[vgprGlobalReadOffsetB+22], s[sgprSrdB:sgprSrdB+3], 0, offen offset:0 // G -> Reg 0_0_22_0
_buffer_load_b32 v[vgprG2LB0+23], v[vgprGlobalReadOffsetB+23], s[sgprSrdB:sgprSrdB+3], 0, offen offset:0 // G -> Reg 0_0_23_0
_buffer_load_b32 v[vgprG2LB0+24], v[vgprGlobalReadOffsetB+24], s[sgprSrdB:sgprSrdB+3], 0, offen offset:0 // G -> Reg 0_0_24_0
_buffer_load_b32 v[vgprG2LB0+25], v[vgprGlobalReadOffsetB+25], s[sgprSrdB:sgprSrdB+3], 0, offen offset:0 // G -> Reg 0_0_25_0
_buffer_load_b32 v[vgprG2LB0+26], v[vgprGlobalReadOffsetB+26], s[sgprSrdB:sgprSrdB+3], 0, offen offset:0 // G -> Reg 0_0_26_0
_buffer_load_b32 v[vgprG2LB0+27], v[vgprGlobalReadOffsetB+27], s[sgprSrdB:sgprSrdB+3], 0, offen offset:0 // G -> Reg 0_0_27_0
_buffer_load_b32 v[vgprG2LB0+28], v[vgprGlobalReadOffsetB+28], s[sgprSrdB:sgprSrdB+3], 0, offen offset:0 // G -> Reg 0_0_28_0
_buffer_load_b32 v[vgprG2LB0+29], v[vgprGlobalReadOffsetB+29], s[sgprSrdB:sgprSrdB+3], 0, offen offset:0 // G -> Reg 0_0_29_0
_buffer_load_b32 v[vgprG2LB0+30], v[vgprGlobalReadOffsetB+30], s[sgprSrdB:sgprSrdB+3], 0, offen offset:0 // G -> Reg 0_0_30_0
_buffer_load_b32 v[vgprG2LB0+31], v[vgprGlobalReadOffsetB+31], s[sgprSrdB:sgprSrdB+3], 0, offen offset:0 // G -> Reg 0_0_31_0


/* global read inc A loopL */
s_add_u32 s60, s[sgprLoopCounterL], 1              // remove pf(1)
s_cmp_eq_u32 s[sgprStaggerUIter], s60              // Is this wrapIter? (pf)
s_cselect_b32 s58, s[sgprWrapUA+0], s[sgprGlobalReadIncsA+0] // incLower <- ?
s_cselect_b32 s59, s[sgprWrapUA+1], 0              // incUpper <- ?
s_add_u32 s[sgprSrdA+0], s[sgprSrdA+0], s58        // gra SRD += inc(lower)
s_addc_u32  s[sgprSrdA+1], s[sgprSrdA+1], s59      // gra SRD += inc(upper)
s_sub_u32 s[sgprShadowLimitA+0], s[sgprShadowLimitA+0], s58 // limit -= inc)
s_subb_u32 s[sgprShadowLimitA+1], s[sgprShadowLimitA+1], s59 // limit -= inc)
s_cmp_eq_u32 s[sgprShadowLimitA+1], 0              // are we within 2^32?
s_cselect_b32 s[sgprSrdA+2], s[sgprShadowLimitA+0], BufferLimitA // Move shadow to real if we are within 2^32

/* global read inc B loopL */
s_add_u32 s60, s[sgprLoopCounterL], 1              // remove pf(1)
s_cmp_eq_u32 s[sgprStaggerUIter], s60              // Is this wrapIter? (pf)
s_cselect_b32 s58, s[sgprWrapUB+0], s[sgprGlobalReadIncsB+0] // incLower <- ?
s_cselect_b32 s59, s[sgprWrapUB+1], 0              // incUpper <- ?
s_add_u32 s[sgprSrdB+0], s[sgprSrdB+0], s58        // gra SRD += inc(lower)
s_addc_u32  s[sgprSrdB+1], s[sgprSrdB+1], s59      // gra SRD += inc(upper)
s_sub_u32 s[sgprShadowLimitB+0], s[sgprShadowLimitB+0], s58 // limit -= inc)
s_subb_u32 s[sgprShadowLimitB+1], s[sgprShadowLimitB+1], s59 // limit -= inc)
s_cmp_eq_u32 s[sgprShadowLimitB+1], 0              // are we within 2^32?
s_cselect_b32 s[sgprSrdB+2], s[sgprShadowLimitB+0], BufferLimitB // Move shadow to real if we are within 2^32


/******************************************/
/* End setupNewTile, isPap=False             */
/******************************************/

ShadowInitStart_10: // 

s_mov_b32 s[sgprSrdD+2], BufferOOB                 // 
s_mov_b32 s[sgprSrdD+3], Srd127_96                 // Set bits 127_96 in post-loop SRD

s_mov_b32 s[sgprSrdC+2], BufferOOB                 // 
s_mov_b32 s[sgprSrdC+3], Srd127_96                 // Set bits 127_96 in post-loop SRD


s_mul_i32 s58, MT1, s[sgprWorkGroup1]              // <- wg1*MT1
s_mul_hi_u32 s57, s58, s[sgprStrideC1J]            // CScale s58 by Stride
s_mul_i32 s56, s58, s[sgprStrideC1J]               // CScale s58 by Stride
s_lshl_b64 s[56:57], s[56:57], 2                   // scale by bpe
s_add_u32 s[sgprSrdC+0], s[sgprSrdC+0], s56        // add lo to SRD
s_addc_u32 s[sgprSrdC+1], s[sgprSrdC+1], s57       // add hi to SRD
s_mul_hi_u32 s57, s58, s[sgprStrideD1J]            // Scale s58 by Stride
s_mul_i32 s56, s58, s[sgprStrideD1J]               // Scale s58 by Stride
s_lshl_b64 s[56:57], s[56:57], 2                   // scale by bpe
s_add_u32 s[sgprSrdD+0], s[sgprSrdD+0], s56        // add lo to SRD
s_addc_u32 s[sgprSrdD+1], s[sgprSrdD+1], s57       // add hi to SRD

s_mul_hi_u32 s57, s[sgprWorkGroup2], s[sgprStrideCK] // CScale s[sgprWorkGroup2] by Stride
s_mul_i32 s56, s[sgprWorkGroup2], s[sgprStrideCK]  // CScale s[sgprWorkGroup2] by Stride
s_lshl_b64 s[56:57], s[56:57], 2                   // scale by bpe
s_add_u32 s[sgprSrdC+0], s[sgprSrdC+0], s56        // add lo to SRD
s_addc_u32 s[sgprSrdC+1], s[sgprSrdC+1], s57       // add hi to SRD
s_mul_hi_u32 s57, s[sgprWorkGroup2], s[sgprStrideDK] // Scale s[sgprWorkGroup2] by Stride
s_mul_i32 s56, s[sgprWorkGroup2], s[sgprStrideDK]  // Scale s[sgprWorkGroup2] by Stride
s_lshl_b64 s[56:57], s[56:57], 2                   // scale by bpe
s_add_u32 s[sgprSrdD+0], s[sgprSrdD+0], s56        // add lo to SRD
s_addc_u32 s[sgprSrdD+1], s[sgprSrdD+1], s57       // add hi to SRD


	;; [unrolled: 1-line block ×3, first 2 shown]
/* initC: remove C-tile 0-0 from pool */

/* initC: remove AB-tile 0-2 from pool */
v_accvgpr_write acc0, 0x0                          // initC
v_accvgpr_write acc1, 0x0                          // initC
v_accvgpr_write acc2, 0x0                          // initC
v_accvgpr_write acc3, 0x0                          // initC
v_accvgpr_write acc4, 0x0                          // initC
v_accvgpr_write acc5, 0x0                          // initC
v_accvgpr_write acc6, 0x0                          // initC
v_accvgpr_write acc7, 0x0                          // initC
v_accvgpr_write acc8, 0x0                          // initC
v_accvgpr_write acc9, 0x0                          // initC
v_accvgpr_write acc10, 0x0                         // initC
v_accvgpr_write acc11, 0x0                         // initC
v_accvgpr_write acc12, 0x0                         // initC
v_accvgpr_write acc13, 0x0                         // initC
v_accvgpr_write acc14, 0x0                         // initC
v_accvgpr_write acc15, 0x0                         // initC

s_cmp_eq_u32 s[sgprLoopCounterL], 0                // at last iteration?

/* after InitC, skip to end of prefetch last iter if numIter==0 */
s_cbranch_scc0 label_NoBranch_11                   // Only branch on scc1
s_getpc_B64 s[56:57]                               // addr of next instr
s_add_i32 s58, PrefetchGlobalLastIterEnd_5, 0x4    // target branch offset
s_add_u32 s56, s56, s58                            // add target branch offset
s_addc_u32 s57, s57, 0                             // add high and carry
s_setpc_b64 s[56:57]                               // branch to PrefetchGlobalLastIterEnd_5
label_NoBranch_11:

s_waitcnt vmcnt(32)                                // lgkmcnt=-1 vmcnt=32 8wait for global read


/* local write a */
_ds_store_b32 v[vgprLocalWriteAddrA], v[vgprG2LA+0] offset:0 // lwoA_0_0_0_0 = (0*LSCA) + (0*LSPA)(*MT0I+PAD) = 0
_ds_store_b32 v[vgprLocalWriteAddrA], v[vgprG2LA+1] offset:2048 // lwoA_0_0_1_0 = (0*LSCA) + (1*LSPA)(*MT0I+PAD) = 2048

/* local write b */


/* local write swap a */


/* (EPS=1) local write swap internal offset -> 4096 */


/* local write swap b */


/* (EPS=1) local write swap internal offset -> 4096 */


	;; [unrolled: 1-line block ×3, first 2 shown]
s_cmp_eq_u32 s[sgprLoopCounterL] 0x1               // PGR=2 but only 1 loop
s_cbranch_scc1 label_0012                          // PGR=2 but only 1 loop


_buffer_load_b32 v[vgprG2LA+0], v[vgprGlobalReadOffsetA+0], s[sgprSrdA:sgprSrdA+3], 0, offen offset:0 // G -> Reg 0_0_0_0
_buffer_load_b32 v[vgprG2LA+1], v[vgprGlobalReadOffsetA+1], s[sgprSrdA:sgprSrdA+3], 0, offen offset:0 // G -> Reg 0_0_1_0


_buffer_load_b32 v[vgprG2LB1+0], v[vgprGlobalReadOffsetB+0], s[sgprSrdB:sgprSrdB+3], 0, offen offset:0 // G -> Reg 0_0_0_0
_buffer_load_b32 v[vgprG2LB1+1], v[vgprGlobalReadOffsetB+1], s[sgprSrdB:sgprSrdB+3], 0, offen offset:0 // G -> Reg 0_0_1_0
_buffer_load_b32 v[vgprG2LB1+2], v[vgprGlobalReadOffsetB+2], s[sgprSrdB:sgprSrdB+3], 0, offen offset:0 // G -> Reg 0_0_2_0
_buffer_load_b32 v[vgprG2LB1+3], v[vgprGlobalReadOffsetB+3], s[sgprSrdB:sgprSrdB+3], 0, offen offset:0 // G -> Reg 0_0_3_0
_buffer_load_b32 v[vgprG2LB1+4], v[vgprGlobalReadOffsetB+4], s[sgprSrdB:sgprSrdB+3], 0, offen offset:0 // G -> Reg 0_0_4_0
_buffer_load_b32 v[vgprG2LB1+5], v[vgprGlobalReadOffsetB+5], s[sgprSrdB:sgprSrdB+3], 0, offen offset:0 // G -> Reg 0_0_5_0
_buffer_load_b32 v[vgprG2LB1+6], v[vgprGlobalReadOffsetB+6], s[sgprSrdB:sgprSrdB+3], 0, offen offset:0 // G -> Reg 0_0_6_0
_buffer_load_b32 v[vgprG2LB1+7], v[vgprGlobalReadOffsetB+7], s[sgprSrdB:sgprSrdB+3], 0, offen offset:0 // G -> Reg 0_0_7_0
_buffer_load_b32 v[vgprG2LB1+8], v[vgprGlobalReadOffsetB+8], s[sgprSrdB:sgprSrdB+3], 0, offen offset:0 // G -> Reg 0_0_8_0
_buffer_load_b32 v[vgprG2LB1+9], v[vgprGlobalReadOffsetB+9], s[sgprSrdB:sgprSrdB+3], 0, offen offset:0 // G -> Reg 0_0_9_0
_buffer_load_b32 v[vgprG2LB1+10], v[vgprGlobalReadOffsetB+10], s[sgprSrdB:sgprSrdB+3], 0, offen offset:0 // G -> Reg 0_0_10_0
_buffer_load_b32 v[vgprG2LB1+11], v[vgprGlobalReadOffsetB+11], s[sgprSrdB:sgprSrdB+3], 0, offen offset:0 // G -> Reg 0_0_11_0
_buffer_load_b32 v[vgprG2LB1+12], v[vgprGlobalReadOffsetB+12], s[sgprSrdB:sgprSrdB+3], 0, offen offset:0 // G -> Reg 0_0_12_0
_buffer_load_b32 v[vgprG2LB1+13], v[vgprGlobalReadOffsetB+13], s[sgprSrdB:sgprSrdB+3], 0, offen offset:0 // G -> Reg 0_0_13_0
_buffer_load_b32 v[vgprG2LB1+14], v[vgprGlobalReadOffsetB+14], s[sgprSrdB:sgprSrdB+3], 0, offen offset:0 // G -> Reg 0_0_14_0
_buffer_load_b32 v[vgprG2LB1+15], v[vgprGlobalReadOffsetB+15], s[sgprSrdB:sgprSrdB+3], 0, offen offset:0 // G -> Reg 0_0_15_0
_buffer_load_b32 v[vgprG2LB1+16], v[vgprGlobalReadOffsetB+16], s[sgprSrdB:sgprSrdB+3], 0, offen offset:0 // G -> Reg 0_0_16_0
_buffer_load_b32 v[vgprG2LB1+17], v[vgprGlobalReadOffsetB+17], s[sgprSrdB:sgprSrdB+3], 0, offen offset:0 // G -> Reg 0_0_17_0
_buffer_load_b32 v[vgprG2LB1+18], v[vgprGlobalReadOffsetB+18], s[sgprSrdB:sgprSrdB+3], 0, offen offset:0 // G -> Reg 0_0_18_0
_buffer_load_b32 v[vgprG2LB1+19], v[vgprGlobalReadOffsetB+19], s[sgprSrdB:sgprSrdB+3], 0, offen offset:0 // G -> Reg 0_0_19_0
_buffer_load_b32 v[vgprG2LB1+20], v[vgprGlobalReadOffsetB+20], s[sgprSrdB:sgprSrdB+3], 0, offen offset:0 // G -> Reg 0_0_20_0
_buffer_load_b32 v[vgprG2LB1+21], v[vgprGlobalReadOffsetB+21], s[sgprSrdB:sgprSrdB+3], 0, offen offset:0 // G -> Reg 0_0_21_0
_buffer_load_b32 v[vgprG2LB1+22], v[vgprGlobalReadOffsetB+22], s[sgprSrdB:sgprSrdB+3], 0, offen offset:0 // G -> Reg 0_0_22_0
_buffer_load_b32 v[vgprG2LB1+23], v[vgprGlobalReadOffsetB+23], s[sgprSrdB:sgprSrdB+3], 0, offen offset:0 // G -> Reg 0_0_23_0
_buffer_load_b32 v[vgprG2LB1+24], v[vgprGlobalReadOffsetB+24], s[sgprSrdB:sgprSrdB+3], 0, offen offset:0 // G -> Reg 0_0_24_0
_buffer_load_b32 v[vgprG2LB1+25], v[vgprGlobalReadOffsetB+25], s[sgprSrdB:sgprSrdB+3], 0, offen offset:0 // G -> Reg 0_0_25_0
_buffer_load_b32 v[vgprG2LB1+26], v[vgprGlobalReadOffsetB+26], s[sgprSrdB:sgprSrdB+3], 0, offen offset:0 // G -> Reg 0_0_26_0
_buffer_load_b32 v[vgprG2LB1+27], v[vgprGlobalReadOffsetB+27], s[sgprSrdB:sgprSrdB+3], 0, offen offset:0 // G -> Reg 0_0_27_0
_buffer_load_b32 v[vgprG2LB1+28], v[vgprGlobalReadOffsetB+28], s[sgprSrdB:sgprSrdB+3], 0, offen offset:0 // G -> Reg 0_0_28_0
_buffer_load_b32 v[vgprG2LB1+29], v[vgprGlobalReadOffsetB+29], s[sgprSrdB:sgprSrdB+3], 0, offen offset:0 // G -> Reg 0_0_29_0
_buffer_load_b32 v[vgprG2LB1+30], v[vgprGlobalReadOffsetB+30], s[sgprSrdB:sgprSrdB+3], 0, offen offset:0 // G -> Reg 0_0_30_0
_buffer_load_b32 v[vgprG2LB1+31], v[vgprGlobalReadOffsetB+31], s[sgprSrdB:sgprSrdB+3], 0, offen offset:0 // G -> Reg 0_0_31_0

label_0012:                                        // 

s_waitcnt lgkmcnt(0)                               // lgkmcnt=0 vmcnt=-10prefetch wait for local write

// Skip force waitcnt0
s_barrier //


/* local read prefetch a */

_ds_load_b32 v[vgprValuA_X0_I0+0], v[vgprLocalReadAddrA] offset:0 // L -> Reg lro=0 swapByteOffset=0 ti=16 vIdx=0 rIdx=0 oIdx=0 buffer=0 iui=0


/* local read prefetch b */


	;; [unrolled: 1-line block ×3, first 2 shown]
/* local read inc a */

/* N/A, lro->32 */
/* self.localReadDoCntA 1 self.localReadDoCntB 1 */


/* local read inc b */


	;; [unrolled: 1-line block ×4, first 2 shown]
/******************************************/
/* Unrolled Loop(s) - Begin               */
/******************************************/

openLoopL_13:
s_cmp_eq_u32 s[sgprLoopCounterL], 0x1              // LoopCounterL < EndCounter
s_cbranch_scc1 label_0014                          // PGR=2 but only 1 loop, toPGR1
s_cmp_le_u32 s[sgprLoopCounterL], 0x2              // LoopCounterL < EndCounter
s_cbranch_scc1 LoopEndL_evenexit_4                 // do not enter LoopL
LoopBeginL_1:


/******************************************/
/* Unrolled Loop 1/2 - Begin              */
/******************************************/

label_0015: // LoopCopy1 


/* Begin Each Unroll: Check VGPR.checkin for INT8 LW */


	;; [unrolled: 1-line block ×3, first 2 shown]
/* iter 0 */

s_waitcnt vmcnt(63)                                // lgkmcnt=-1 vmcnt=63global read wait for DirectToVgpr

/*  grEndMfmaIndex:6, lwStartMfmaIndex:22, lwEndMfmaIndex:29  */
/*  numMfmaForLR:0, barrierMfmaIndex:31, LocalWritePerMfma:0.165 */
/*  mfmaIndex:0  */
_ds_load_b32 v[vgprValuA_X1_I0+0], v[vgprLocalReadAddrA] offset:128 // L -> Reg lro=32 swapByteOffset=0 ti=16 vIdx=0 rIdx=0 oIdx=0 buffer=1 iui=0
/* localReadsVacancy: latencyLeft 3 */
s_waitcnt lgkmcnt(1)                               // lgkmcnt=0 vmcnt=-1wait for prior local read local write old=0, new=1 newLW=0 newLR=1
v_mfma_f32_16x16x1_4b_f32 a[0+0:15+0], v[vgprValuA_X0_I0+0+0+0], v[vgprG2LB+0+0], a[0:15]
/* numPrefetchIter=0 */
/* dataAtIterA=-1 numReadsIterA=1 skipReadsIterA=1 readsPerIterA=1 */
/* dataAtIterB=-1 numReadsIterB=1 skipReadsIterB=1 readsPerIterB=1 */


/* iter 1 */

s_waitcnt vmcnt(63)                                // lgkmcnt=-1 vmcnt=63global read wait for DirectToVgpr

/*  grEndMfmaIndex:6, lwStartMfmaIndex:22, lwEndMfmaIndex:29  */
/*  numMfmaForLR:0, barrierMfmaIndex:31, LocalWritePerMfma:0.165 */
/*  mfmaIndex:1  */
_ds_load_b32 v[vgprValuA_X0_I0+0], v[vgprLocalReadAddrA] offset:256 // L -> Reg lro=64 swapByteOffset=0 ti=16 vIdx=0 rIdx=0 oIdx=0 buffer=0 iui=0
/* localReadsVacancy: latencyLeft 3 */

/* global read inc A loopL */
s_cmp_eq_u32 s[sgprLoopCounterL], s[sgprStaggerUIter] // Is this the wrapIter?
s_cselect_b32 s56, s[sgprWrapUA+0], s[sgprGlobalReadIncsA+0] // incLower <- ?
s_cselect_b32 s57, s[sgprWrapUA+1], 0              // incUpper <- ?
s_waitcnt lgkmcnt(1)                               // lgkmcnt=0 vmcnt=-1wait for prior local read local write old=0, new=1 newLW=0 newLR=1
v_mfma_f32_16x16x1_4b_f32 a[0+0:15+0], v[vgprValuA_X1_I0+0+0+0], v[vgprG2LB+1+0], a[0:15]
/* numPrefetchIter=0 */
/* dataAtIterA=0 numReadsIterA=2 skipReadsIterA=1 readsPerIterA=1 */
/* dataAtIterB=0 numReadsIterB=2 skipReadsIterB=1 readsPerIterB=1 */


/* iter 2 */

s_waitcnt vmcnt(63)                                // lgkmcnt=-1 vmcnt=63global read wait for DirectToVgpr

/*  grEndMfmaIndex:6, lwStartMfmaIndex:22, lwEndMfmaIndex:29  */
/*  numMfmaForLR:0, barrierMfmaIndex:31, LocalWritePerMfma:0.165 */
/*  mfmaIndex:2  */
_ds_load_b32 v[vgprValuA_X1_I0+0], v[vgprLocalReadAddrA] offset:384 // L -> Reg lro=96 swapByteOffset=0 ti=16 vIdx=0 rIdx=0 oIdx=0 buffer=1 iui=0
/* localReadsVacancy: latencyLeft 3 */
s_add_u32 s[sgprSrdA+0], s[sgprSrdA+0], s56        // gra SRD += inc(lower)
s_addc_u32  s[sgprSrdA+1], s[sgprSrdA+1], s57      // gra SRD += inc(upper)
s_sub_u32 s[sgprShadowLimitA+0], s[sgprShadowLimitA+0], s56 // limit -= inc)
s_waitcnt lgkmcnt(1)                               // lgkmcnt=0 vmcnt=-1wait for prior local read local write old=0, new=1 newLW=0 newLR=1
v_mfma_f32_16x16x1_4b_f32 a[0+0:15+0], v[vgprValuA_X0_I0+0+0+0], v[vgprG2LB+2+0], a[0:15]
/* numPrefetchIter=0 */
/* dataAtIterA=1 numReadsIterA=3 skipReadsIterA=1 readsPerIterA=1 */
/* dataAtIterB=1 numReadsIterB=3 skipReadsIterB=1 readsPerIterB=1 */


/* iter 3 */

s_waitcnt vmcnt(62)                                // lgkmcnt=-1 vmcnt=62global read wait for DirectToVgpr

/*  grEndMfmaIndex:6, lwStartMfmaIndex:22, lwEndMfmaIndex:29  */
/*  numMfmaForLR:0, barrierMfmaIndex:31, LocalWritePerMfma:0.165 */
/*  mfmaIndex:3  */
_ds_load_b32 v[vgprValuA_X0_I0+0], v[vgprLocalReadAddrA] offset:512 // L -> Reg lro=128 swapByteOffset=0 ti=16 vIdx=0 rIdx=0 oIdx=0 buffer=0 iui=0
/* localReadsVacancy: latencyLeft 3 */
s_subb_u32 s[sgprShadowLimitA+1], s[sgprShadowLimitA+1], s57 // limit -= inc)
s_cmp_eq_u32 s[sgprShadowLimitA+1], 0              // are we within 2^32?
s_cselect_b32 s[sgprSrdA+2], s[sgprShadowLimitA+0], BufferLimitA // Move shadow to real if we are within 2^32
s_waitcnt lgkmcnt(1)                               // lgkmcnt=0 vmcnt=-1wait for prior local read local write old=0, new=1 newLW=0 newLR=1
v_mfma_f32_16x16x1_4b_f32 a[0+0:15+0], v[vgprValuA_X1_I0+0+0+0], v[vgprG2LB+3+0], a[0:15]
/* numPrefetchIter=0 */
/* dataAtIterA=2 numReadsIterA=4 skipReadsIterA=1 readsPerIterA=1 */
/* dataAtIterB=2 numReadsIterB=4 skipReadsIterB=1 readsPerIterB=1 */


/* iter 4 */

s_waitcnt vmcnt(61)                                // lgkmcnt=-1 vmcnt=61global read wait for DirectToVgpr

/*  grEndMfmaIndex:6, lwStartMfmaIndex:22, lwEndMfmaIndex:29  */
/*  numMfmaForLR:0, barrierMfmaIndex:31, LocalWritePerMfma:0.165 */
/*  mfmaIndex:4  */
_ds_load_b32 v[vgprValuA_X1_I0+0], v[vgprLocalReadAddrA] offset:640 // L -> Reg lro=160 swapByteOffset=0 ti=16 vIdx=0 rIdx=0 oIdx=0 buffer=1 iui=0
/* localReadsVacancy: latencyLeft 3 */

/* global read inc B loopL */
s_cmp_eq_u32 s[sgprLoopCounterL], s[sgprStaggerUIter] // Is this the wrapIter?
s_cselect_b32 s56, s[sgprWrapUB+0], s[sgprGlobalReadIncsB+0] // incLower <- ?
s_cselect_b32 s57, s[sgprWrapUB+1], 0              // incUpper <- ?
s_waitcnt lgkmcnt(1)                               // lgkmcnt=0 vmcnt=-1wait for prior local read local write old=0, new=1 newLW=0 newLR=1
v_mfma_f32_16x16x1_4b_f32 a[0+0:15+0], v[vgprValuA_X0_I0+0+0+0], v[vgprG2LB+4+0], a[0:15]
/* numPrefetchIter=0 */
/* dataAtIterA=3 numReadsIterA=5 skipReadsIterA=1 readsPerIterA=1 */
/* dataAtIterB=3 numReadsIterB=5 skipReadsIterB=1 readsPerIterB=1 */


/* iter 5 */

s_waitcnt vmcnt(60)                                // lgkmcnt=-1 vmcnt=60global read wait for DirectToVgpr

/*  grEndMfmaIndex:6, lwStartMfmaIndex:22, lwEndMfmaIndex:29  */
/*  numMfmaForLR:0, barrierMfmaIndex:31, LocalWritePerMfma:0.165 */
/*  mfmaIndex:5  */
_ds_load_b32 v[vgprValuA_X0_I0+0], v[vgprLocalReadAddrA] offset:768 // L -> Reg lro=192 swapByteOffset=0 ti=16 vIdx=0 rIdx=0 oIdx=0 buffer=0 iui=0
/* localReadsVacancy: latencyLeft 3 */
s_add_u32 s[sgprSrdB+0], s[sgprSrdB+0], s56        // gra SRD += inc(lower)
s_addc_u32  s[sgprSrdB+1], s[sgprSrdB+1], s57      // gra SRD += inc(upper)
s_sub_u32 s[sgprShadowLimitB+0], s[sgprShadowLimitB+0], s56 // limit -= inc)
s_waitcnt lgkmcnt(1)                               // lgkmcnt=0 vmcnt=-1wait for prior local read local write old=0, new=1 newLW=0 newLR=1
v_mfma_f32_16x16x1_4b_f32 a[0+0:15+0], v[vgprValuA_X1_I0+0+0+0], v[vgprG2LB+5+0], a[0:15]
/* numPrefetchIter=0 */
/* dataAtIterA=4 numReadsIterA=6 skipReadsIterA=1 readsPerIterA=1 */
/* dataAtIterB=4 numReadsIterB=6 skipReadsIterB=1 readsPerIterB=1 */


/* iter 6 */

s_waitcnt vmcnt(59)                                // lgkmcnt=-1 vmcnt=59global read wait for DirectToVgpr

/*  grEndMfmaIndex:6, lwStartMfmaIndex:22, lwEndMfmaIndex:29  */
/*  numMfmaForLR:0, barrierMfmaIndex:31, LocalWritePerMfma:0.165 */
/*  mfmaIndex:6  */
_ds_load_b32 v[vgprValuA_X1_I0+0], v[vgprLocalReadAddrA] offset:896 // L -> Reg lro=224 swapByteOffset=0 ti=16 vIdx=0 rIdx=0 oIdx=0 buffer=1 iui=0
/* localReadsVacancy: latencyLeft 3 */
s_subb_u32 s[sgprShadowLimitB+1], s[sgprShadowLimitB+1], s57 // limit -= inc)
s_cmp_eq_u32 s[sgprShadowLimitB+1], 0              // are we within 2^32?
s_cselect_b32 s[sgprSrdB+2], s[sgprShadowLimitB+0], BufferLimitB // Move shadow to real if we are within 2^32
s_waitcnt lgkmcnt(1)                               // lgkmcnt=0 vmcnt=-1wait for prior local read local write old=0, new=1 newLW=0 newLR=1
v_mfma_f32_16x16x1_4b_f32 a[0+0:15+0], v[vgprValuA_X0_I0+0+0+0], v[vgprG2LB+6+0], a[0:15]
/* numPrefetchIter=0 */
/* dataAtIterA=5 numReadsIterA=7 skipReadsIterA=1 readsPerIterA=1 */
/* dataAtIterB=5 numReadsIterB=7 skipReadsIterB=1 readsPerIterB=1 */


/* iter 7 */

s_waitcnt vmcnt(58)                                // lgkmcnt=-1 vmcnt=58global read wait for DirectToVgpr

/*  grEndMfmaIndex:6, lwStartMfmaIndex:22, lwEndMfmaIndex:29  */
/*  numMfmaForLR:0, barrierMfmaIndex:31, LocalWritePerMfma:0.165 */
/*  mfmaIndex:7  */
_ds_load_b32 v[vgprValuA_X0_I0+0], v[vgprLocalReadAddrA] offset:1024 // L -> Reg lro=256 swapByteOffset=0 ti=16 vIdx=0 rIdx=0 oIdx=0 buffer=0 iui=0
/* localReadsVacancy: latencyLeft 3 */
s_waitcnt lgkmcnt(1)                               // lgkmcnt=0 vmcnt=-1wait for prior local read local write old=0, new=1 newLW=0 newLR=1
v_mfma_f32_16x16x1_4b_f32 a[0+0:15+0], v[vgprValuA_X1_I0+0+0+0], v[vgprG2LB+7+0], a[0:15]
/* numPrefetchIter=0 */
/* dataAtIterA=6 numReadsIterA=8 skipReadsIterA=1 readsPerIterA=1 */
/* dataAtIterB=6 numReadsIterB=8 skipReadsIterB=1 readsPerIterB=1 */


/* iter 8 */

s_waitcnt vmcnt(57)                                // lgkmcnt=-1 vmcnt=57global read wait for DirectToVgpr

/*  grEndMfmaIndex:6, lwStartMfmaIndex:22, lwEndMfmaIndex:29  */
/*  numMfmaForLR:0, barrierMfmaIndex:31, LocalWritePerMfma:0.165 */
/*  mfmaIndex:8  */
_ds_load_b32 v[vgprValuA_X1_I0+0], v[vgprLocalReadAddrA] offset:1152 // L -> Reg lro=288 swapByteOffset=0 ti=16 vIdx=0 rIdx=0 oIdx=0 buffer=1 iui=0
/* localReadsVacancy: latencyLeft 3 */
s_waitcnt lgkmcnt(1)                               // lgkmcnt=0 vmcnt=-1wait for prior local read local write old=0, new=1 newLW=0 newLR=1
v_mfma_f32_16x16x1_4b_f32 a[0+0:15+0], v[vgprValuA_X0_I0+0+0+0], v[vgprG2LB+8+0], a[0:15]
/* numPrefetchIter=0 */
/* dataAtIterA=7 numReadsIterA=9 skipReadsIterA=1 readsPerIterA=1 */
/* dataAtIterB=7 numReadsIterB=9 skipReadsIterB=1 readsPerIterB=1 */


/* iter 9 */

s_waitcnt vmcnt(56)                                // lgkmcnt=-1 vmcnt=56global read wait for DirectToVgpr

/*  grEndMfmaIndex:6, lwStartMfmaIndex:22, lwEndMfmaIndex:29  */
/*  numMfmaForLR:0, barrierMfmaIndex:31, LocalWritePerMfma:0.165 */
/*  mfmaIndex:9  */
_ds_load_b32 v[vgprValuA_X0_I0+0], v[vgprLocalReadAddrA] offset:1280 // L -> Reg lro=320 swapByteOffset=0 ti=16 vIdx=0 rIdx=0 oIdx=0 buffer=0 iui=0
/* localReadsVacancy: latencyLeft 3 */
s_waitcnt lgkmcnt(1)                               // lgkmcnt=0 vmcnt=-1wait for prior local read local write old=0, new=1 newLW=0 newLR=1
v_mfma_f32_16x16x1_4b_f32 a[0+0:15+0], v[vgprValuA_X1_I0+0+0+0], v[vgprG2LB+9+0], a[0:15]
/* numPrefetchIter=0 */
/* dataAtIterA=8 numReadsIterA=10 skipReadsIterA=1 readsPerIterA=1 */
/* dataAtIterB=8 numReadsIterB=10 skipReadsIterB=1 readsPerIterB=1 */


/* iter 10 */

s_waitcnt vmcnt(55)                                // lgkmcnt=-1 vmcnt=55global read wait for DirectToVgpr

/*  grEndMfmaIndex:6, lwStartMfmaIndex:22, lwEndMfmaIndex:29  */
/*  numMfmaForLR:0, barrierMfmaIndex:31, LocalWritePerMfma:0.165 */
/*  mfmaIndex:10  */
_ds_load_b32 v[vgprValuA_X1_I0+0], v[vgprLocalReadAddrA] offset:1408 // L -> Reg lro=352 swapByteOffset=0 ti=16 vIdx=0 rIdx=0 oIdx=0 buffer=1 iui=0
/* localReadsVacancy: latencyLeft 3 */
s_waitcnt lgkmcnt(1)                               // lgkmcnt=0 vmcnt=-1wait for prior local read local write old=0, new=1 newLW=0 newLR=1
v_mfma_f32_16x16x1_4b_f32 a[0+0:15+0], v[vgprValuA_X0_I0+0+0+0], v[vgprG2LB+10+0], a[0:15]
/* numPrefetchIter=0 */
/* dataAtIterA=9 numReadsIterA=11 skipReadsIterA=1 readsPerIterA=1 */
/* dataAtIterB=9 numReadsIterB=11 skipReadsIterB=1 readsPerIterB=1 */


/* iter 11 */

s_waitcnt vmcnt(54)                                // lgkmcnt=-1 vmcnt=54global read wait for DirectToVgpr

/*  grEndMfmaIndex:6, lwStartMfmaIndex:22, lwEndMfmaIndex:29  */
/*  numMfmaForLR:0, barrierMfmaIndex:31, LocalWritePerMfma:0.165 */
/*  mfmaIndex:11  */
_ds_load_b32 v[vgprValuA_X0_I0+0], v[vgprLocalReadAddrA] offset:1536 // L -> Reg lro=384 swapByteOffset=0 ti=16 vIdx=0 rIdx=0 oIdx=0 buffer=0 iui=0
/* localReadsVacancy: latencyLeft 3 */
s_waitcnt lgkmcnt(1)                               // lgkmcnt=0 vmcnt=-1wait for prior local read local write old=0, new=1 newLW=0 newLR=1
v_mfma_f32_16x16x1_4b_f32 a[0+0:15+0], v[vgprValuA_X1_I0+0+0+0], v[vgprG2LB+11+0], a[0:15]
/* numPrefetchIter=0 */
/* dataAtIterA=10 numReadsIterA=12 skipReadsIterA=1 readsPerIterA=1 */
/* dataAtIterB=10 numReadsIterB=12 skipReadsIterB=1 readsPerIterB=1 */


/* iter 12 */

s_waitcnt vmcnt(53)                                // lgkmcnt=-1 vmcnt=53global read wait for DirectToVgpr

/*  grEndMfmaIndex:6, lwStartMfmaIndex:22, lwEndMfmaIndex:29  */
/*  numMfmaForLR:0, barrierMfmaIndex:31, LocalWritePerMfma:0.165 */
/*  mfmaIndex:12  */
_ds_load_b32 v[vgprValuA_X1_I0+0], v[vgprLocalReadAddrA] offset:1664 // L -> Reg lro=416 swapByteOffset=0 ti=16 vIdx=0 rIdx=0 oIdx=0 buffer=1 iui=0
/* localReadsVacancy: latencyLeft 3 */
s_waitcnt lgkmcnt(1)                               // lgkmcnt=0 vmcnt=-1wait for prior local read local write old=0, new=1 newLW=0 newLR=1
v_mfma_f32_16x16x1_4b_f32 a[0+0:15+0], v[vgprValuA_X0_I0+0+0+0], v[vgprG2LB+12+0], a[0:15]
/* numPrefetchIter=0 */
/* dataAtIterA=11 numReadsIterA=13 skipReadsIterA=1 readsPerIterA=1 */
/* dataAtIterB=11 numReadsIterB=13 skipReadsIterB=1 readsPerIterB=1 */


/* iter 13 */

s_waitcnt vmcnt(52)                                // lgkmcnt=-1 vmcnt=52global read wait for DirectToVgpr

/*  grEndMfmaIndex:6, lwStartMfmaIndex:22, lwEndMfmaIndex:29  */
/*  numMfmaForLR:0, barrierMfmaIndex:31, LocalWritePerMfma:0.165 */
/*  mfmaIndex:13  */
_ds_load_b32 v[vgprValuA_X0_I0+0], v[vgprLocalReadAddrA] offset:1792 // L -> Reg lro=448 swapByteOffset=0 ti=16 vIdx=0 rIdx=0 oIdx=0 buffer=0 iui=0
/* localReadsVacancy: latencyLeft 3 */
s_waitcnt lgkmcnt(1)                               // lgkmcnt=0 vmcnt=-1wait for prior local read local write old=0, new=1 newLW=0 newLR=1
v_mfma_f32_16x16x1_4b_f32 a[0+0:15+0], v[vgprValuA_X1_I0+0+0+0], v[vgprG2LB+13+0], a[0:15]
/* numPrefetchIter=0 */
/* dataAtIterA=12 numReadsIterA=14 skipReadsIterA=1 readsPerIterA=1 */
/* dataAtIterB=12 numReadsIterB=14 skipReadsIterB=1 readsPerIterB=1 */


/* iter 14 */

s_waitcnt vmcnt(51)                                // lgkmcnt=-1 vmcnt=51global read wait for DirectToVgpr

/*  grEndMfmaIndex:6, lwStartMfmaIndex:22, lwEndMfmaIndex:29  */
/*  numMfmaForLR:0, barrierMfmaIndex:31, LocalWritePerMfma:0.165 */
/*  mfmaIndex:14  */
_ds_load_b32 v[vgprValuA_X1_I0+0], v[vgprLocalReadAddrA] offset:1920 // L -> Reg lro=480 swapByteOffset=0 ti=16 vIdx=0 rIdx=0 oIdx=0 buffer=1 iui=0
/* localReadsVacancy: latencyLeft 3 */
s_waitcnt lgkmcnt(1)                               // lgkmcnt=0 vmcnt=-1wait for prior local read local write old=0, new=1 newLW=0 newLR=1
v_mfma_f32_16x16x1_4b_f32 a[0+0:15+0], v[vgprValuA_X0_I0+0+0+0], v[vgprG2LB+14+0], a[0:15]
/* numPrefetchIter=0 */
/* dataAtIterA=13 numReadsIterA=15 skipReadsIterA=1 readsPerIterA=1 */
/* dataAtIterB=13 numReadsIterB=15 skipReadsIterB=1 readsPerIterB=1 */


/* iter 15 */

s_waitcnt vmcnt(50)                                // lgkmcnt=-1 vmcnt=50global read wait for DirectToVgpr

/*  grEndMfmaIndex:6, lwStartMfmaIndex:22, lwEndMfmaIndex:29  */
/*  numMfmaForLR:0, barrierMfmaIndex:31, LocalWritePerMfma:0.165 */
/*  mfmaIndex:15  */
_ds_load_b32 v[vgprValuA_X0_I0+0], v[vgprLocalReadAddrA] offset:2048 // L -> Reg lro=512 swapByteOffset=0 ti=16 vIdx=0 rIdx=0 oIdx=0 buffer=0 iui=0
/* localReadsVacancy: latencyLeft 3 */
s_waitcnt lgkmcnt(1)                               // lgkmcnt=0 vmcnt=-1wait for prior local read local write old=0, new=1 newLW=0 newLR=1
v_mfma_f32_16x16x1_4b_f32 a[0+0:15+0], v[vgprValuA_X1_I0+0+0+0], v[vgprG2LB+15+0], a[0:15]
/* numPrefetchIter=0 */
/* dataAtIterA=14 numReadsIterA=16 skipReadsIterA=1 readsPerIterA=1 */
/* dataAtIterB=14 numReadsIterB=16 skipReadsIterB=1 readsPerIterB=1 */


/* iter 16 */

s_waitcnt vmcnt(49)                                // lgkmcnt=-1 vmcnt=49global read wait for DirectToVgpr

/*  grEndMfmaIndex:6, lwStartMfmaIndex:22, lwEndMfmaIndex:29  */
/*  numMfmaForLR:0, barrierMfmaIndex:31, LocalWritePerMfma:0.165 */
/*  mfmaIndex:16  */
_ds_load_b32 v[vgprValuA_X1_I0+0], v[vgprLocalReadAddrA] offset:2176 // L -> Reg lro=544 swapByteOffset=0 ti=16 vIdx=0 rIdx=0 oIdx=0 buffer=1 iui=0
/* localReadsVacancy: latencyLeft 3 */
s_waitcnt lgkmcnt(1)                               // lgkmcnt=0 vmcnt=-1wait for prior local read local write old=0, new=1 newLW=0 newLR=1
v_mfma_f32_16x16x1_4b_f32 a[0+0:15+0], v[vgprValuA_X0_I0+0+0+0], v[vgprG2LB+16+0], a[0:15]
/* numPrefetchIter=0 */
/* dataAtIterA=15 numReadsIterA=17 skipReadsIterA=1 readsPerIterA=1 */
/* dataAtIterB=15 numReadsIterB=17 skipReadsIterB=1 readsPerIterB=1 */


/* iter 17 */

s_waitcnt vmcnt(48)                                // lgkmcnt=-1 vmcnt=48global read wait for DirectToVgpr

/*  grEndMfmaIndex:6, lwStartMfmaIndex:22, lwEndMfmaIndex:29  */
/*  numMfmaForLR:0, barrierMfmaIndex:31, LocalWritePerMfma:0.165 */
/*  mfmaIndex:17  */
_ds_load_b32 v[vgprValuA_X0_I0+0], v[vgprLocalReadAddrA] offset:2304 // L -> Reg lro=576 swapByteOffset=0 ti=16 vIdx=0 rIdx=0 oIdx=0 buffer=0 iui=0
/* localReadsVacancy: latencyLeft 3 */
s_waitcnt lgkmcnt(1)                               // lgkmcnt=0 vmcnt=-1wait for prior local read local write old=0, new=1 newLW=0 newLR=1
v_mfma_f32_16x16x1_4b_f32 a[0+0:15+0], v[vgprValuA_X1_I0+0+0+0], v[vgprG2LB+17+0], a[0:15]
/* numPrefetchIter=0 */
/* dataAtIterA=16 numReadsIterA=18 skipReadsIterA=1 readsPerIterA=1 */
/* dataAtIterB=16 numReadsIterB=18 skipReadsIterB=1 readsPerIterB=1 */


/* iter 18 */

s_waitcnt vmcnt(47)                                // lgkmcnt=-1 vmcnt=47global read wait for DirectToVgpr

/*  grEndMfmaIndex:6, lwStartMfmaIndex:22, lwEndMfmaIndex:29  */
/*  numMfmaForLR:0, barrierMfmaIndex:31, LocalWritePerMfma:0.165 */
/*  mfmaIndex:18  */
_ds_load_b32 v[vgprValuA_X1_I0+0], v[vgprLocalReadAddrA] offset:2432 // L -> Reg lro=608 swapByteOffset=0 ti=16 vIdx=0 rIdx=0 oIdx=0 buffer=1 iui=0
/* localReadsVacancy: latencyLeft 3 */
s_waitcnt lgkmcnt(1)                               // lgkmcnt=0 vmcnt=-1wait for prior local read local write old=0, new=1 newLW=0 newLR=1
v_mfma_f32_16x16x1_4b_f32 a[0+0:15+0], v[vgprValuA_X0_I0+0+0+0], v[vgprG2LB+18+0], a[0:15]
/* numPrefetchIter=0 */
/* dataAtIterA=17 numReadsIterA=19 skipReadsIterA=1 readsPerIterA=1 */
/* dataAtIterB=17 numReadsIterB=19 skipReadsIterB=1 readsPerIterB=1 */


/* iter 19 */

s_waitcnt vmcnt(46)                                // lgkmcnt=-1 vmcnt=46global read wait for DirectToVgpr

/*  grEndMfmaIndex:6, lwStartMfmaIndex:22, lwEndMfmaIndex:29  */
/*  numMfmaForLR:0, barrierMfmaIndex:31, LocalWritePerMfma:0.165 */
/*  mfmaIndex:19  */
_ds_load_b32 v[vgprValuA_X0_I0+0], v[vgprLocalReadAddrA] offset:2560 // L -> Reg lro=640 swapByteOffset=0 ti=16 vIdx=0 rIdx=0 oIdx=0 buffer=0 iui=0
/* localReadsVacancy: latencyLeft 3 */
s_waitcnt lgkmcnt(1)                               // lgkmcnt=0 vmcnt=-1wait for prior local read local write old=0, new=1 newLW=0 newLR=1
v_mfma_f32_16x16x1_4b_f32 a[0+0:15+0], v[vgprValuA_X1_I0+0+0+0], v[vgprG2LB+19+0], a[0:15]
/* numPrefetchIter=0 */
/* dataAtIterA=18 numReadsIterA=20 skipReadsIterA=1 readsPerIterA=1 */
/* dataAtIterB=18 numReadsIterB=20 skipReadsIterB=1 readsPerIterB=1 */


/* iter 20 */

s_waitcnt vmcnt(45)                                // lgkmcnt=-1 vmcnt=45global read wait for DirectToVgpr

/*  grEndMfmaIndex:6, lwStartMfmaIndex:22, lwEndMfmaIndex:29  */
/*  numMfmaForLR:0, barrierMfmaIndex:31, LocalWritePerMfma:0.165 */
/*  mfmaIndex:20  */
_ds_load_b32 v[vgprValuA_X1_I0+0], v[vgprLocalReadAddrA] offset:2688 // L -> Reg lro=672 swapByteOffset=0 ti=16 vIdx=0 rIdx=0 oIdx=0 buffer=1 iui=0
/* localReadsVacancy: latencyLeft 3 */
s_waitcnt lgkmcnt(1)                               // lgkmcnt=0 vmcnt=-1wait for prior local read local write old=0, new=1 newLW=0 newLR=1
v_mfma_f32_16x16x1_4b_f32 a[0+0:15+0], v[vgprValuA_X0_I0+0+0+0], v[vgprG2LB+20+0], a[0:15]
/* numPrefetchIter=0 */
/* dataAtIterA=19 numReadsIterA=21 skipReadsIterA=1 readsPerIterA=1 */
/* dataAtIterB=19 numReadsIterB=21 skipReadsIterB=1 readsPerIterB=1 */


/* iter 21 */

s_waitcnt vmcnt(44)                                // lgkmcnt=-1 vmcnt=44global read wait for DirectToVgpr

/*  grEndMfmaIndex:6, lwStartMfmaIndex:22, lwEndMfmaIndex:29  */
/*  numMfmaForLR:0, barrierMfmaIndex:31, LocalWritePerMfma:0.165 */
/*  mfmaIndex:21  */
_ds_load_b32 v[vgprValuA_X0_I0+0], v[vgprLocalReadAddrA] offset:2816 // L -> Reg lro=704 swapByteOffset=0 ti=16 vIdx=0 rIdx=0 oIdx=0 buffer=0 iui=0
/* localReadsVacancy: latencyLeft 3 */
s_waitcnt lgkmcnt(1)                               // lgkmcnt=0 vmcnt=-1wait for prior local read local write old=0, new=1 newLW=0 newLR=1
v_mfma_f32_16x16x1_4b_f32 a[0+0:15+0], v[vgprValuA_X1_I0+0+0+0], v[vgprG2LB+21+0], a[0:15]
/* numPrefetchIter=0 */
/* dataAtIterA=20 numReadsIterA=22 skipReadsIterA=1 readsPerIterA=1 */
/* dataAtIterB=20 numReadsIterB=22 skipReadsIterB=1 readsPerIterB=1 */


/* iter 22 */

s_waitcnt vmcnt(43)                                // lgkmcnt=-1 vmcnt=43global read wait for DirectToVgpr

/*  grEndMfmaIndex:6, lwStartMfmaIndex:22, lwEndMfmaIndex:29  */
/*  numMfmaForLR:0, barrierMfmaIndex:31, LocalWritePerMfma:0.165 */
/*  mfmaIndex:22  */
_ds_load_b32 v[vgprValuA_X1_I0+0], v[vgprLocalReadAddrA] offset:2944 // L -> Reg lro=736 swapByteOffset=0 ti=16 vIdx=0 rIdx=0 oIdx=0 buffer=1 iui=0
/* sched write - iter 22 writesPerItem=1 */
s_waitcnt vmcnt(0)                                 // lgkmcnt=-1 vmcnt=0wait for global read before writing to local
_ds_store_b32 v[vgprLocalWriteAddrA], v[vgprG2LA+0] offset:4096 // lwoA_0_0_0_0 = (0*LSCA) + (0*LSPA)(*MT0I+PAD) = 4096
s_waitcnt lgkmcnt(2)                               // lgkmcnt=0 vmcnt=-1wait for prior local read local write old=0, new=2 newLW=1 newLR=1
v_mfma_f32_16x16x1_4b_f32 a[0+0:15+0], v[vgprValuA_X0_I0+0+0+0], v[vgprG2LB+22+0], a[0:15]
/* numPrefetchIter=0 */
/* dataAtIterA=21 numReadsIterA=23 skipReadsIterA=1 readsPerIterA=1 */
/* dataAtIterB=21 numReadsIterB=23 skipReadsIterB=1 readsPerIterB=1 */


/* iter 23 */

/*  grEndMfmaIndex:6, lwStartMfmaIndex:22, lwEndMfmaIndex:29  */
/*  numMfmaForLR:0, barrierMfmaIndex:31, LocalWritePerMfma:0.165 */
/*  mfmaIndex:23  */
_ds_load_b32 v[vgprValuA_X0_I0+0], v[vgprLocalReadAddrA] offset:3072 // L -> Reg lro=768 swapByteOffset=0 ti=16 vIdx=0 rIdx=0 oIdx=0 buffer=0 iui=0
/* localReadsVacancy: latencyLeft 3 */
_buffer_load_b32 v[vgprG2LA+0], v[vgprGlobalReadOffsetA+0], s[sgprSrdA:sgprSrdA+3], 0, offen offset:0 // G -> Reg 0_0_0_0
s_waitcnt lgkmcnt(2)                               // lgkmcnt=0 vmcnt=-1wait for prior local read local write old=0, new=2 newLW=1 newLR=1
v_mfma_f32_16x16x1_4b_f32 a[0+0:15+0], v[vgprValuA_X1_I0+0+0+0], v[vgprG2LB+23+0], a[0:15]
/* numPrefetchIter=0 */
/* dataAtIterA=22 numReadsIterA=24 skipReadsIterA=1 readsPerIterA=1 */
/* dataAtIterB=22 numReadsIterB=24 skipReadsIterB=1 readsPerIterB=1 */


/* iter 24 */

/*  grEndMfmaIndex:6, lwStartMfmaIndex:22, lwEndMfmaIndex:29  */
/*  numMfmaForLR:0, barrierMfmaIndex:31, LocalWritePerMfma:0.165 */
/*  mfmaIndex:24  */
_ds_load_b32 v[vgprValuA_X1_I0+0], v[vgprLocalReadAddrA] offset:3200 // L -> Reg lro=800 swapByteOffset=0 ti=16 vIdx=0 rIdx=0 oIdx=0 buffer=1 iui=0
/* localReadsVacancy: latencyLeft 3 */
s_waitcnt lgkmcnt(1)                               // lgkmcnt=0 vmcnt=-1wait for prior local read local write old=0, new=1 newLW=0 newLR=1
v_mfma_f32_16x16x1_4b_f32 a[0+0:15+0], v[vgprValuA_X0_I0+0+0+0], v[vgprG2LB+24+0], a[0:15]
/* numPrefetchIter=0 */
/* dataAtIterA=23 numReadsIterA=25 skipReadsIterA=1 readsPerIterA=1 */
/* dataAtIterB=23 numReadsIterB=25 skipReadsIterB=1 readsPerIterB=1 */


/* iter 25 */

/*  grEndMfmaIndex:6, lwStartMfmaIndex:22, lwEndMfmaIndex:29  */
/*  numMfmaForLR:0, barrierMfmaIndex:31, LocalWritePerMfma:0.165 */
/*  mfmaIndex:25  */
_ds_load_b32 v[vgprValuA_X0_I0+0], v[vgprLocalReadAddrA] offset:3328 // L -> Reg lro=832 swapByteOffset=0 ti=16 vIdx=0 rIdx=0 oIdx=0 buffer=0 iui=0
/* localReadsVacancy: latencyLeft 3 */
s_waitcnt lgkmcnt(1)                               // lgkmcnt=0 vmcnt=-1wait for prior local read local write old=0, new=1 newLW=0 newLR=1
v_mfma_f32_16x16x1_4b_f32 a[0+0:15+0], v[vgprValuA_X1_I0+0+0+0], v[vgprG2LB+25+0], a[0:15]
/* numPrefetchIter=0 */
/* dataAtIterA=24 numReadsIterA=26 skipReadsIterA=1 readsPerIterA=1 */
/* dataAtIterB=24 numReadsIterB=26 skipReadsIterB=1 readsPerIterB=1 */


/* iter 26 */

/*  grEndMfmaIndex:6, lwStartMfmaIndex:22, lwEndMfmaIndex:29  */
/*  numMfmaForLR:0, barrierMfmaIndex:31, LocalWritePerMfma:0.165 */
/*  mfmaIndex:26  */
_ds_load_b32 v[vgprValuA_X1_I0+0], v[vgprLocalReadAddrA] offset:3456 // L -> Reg lro=864 swapByteOffset=0 ti=16 vIdx=0 rIdx=0 oIdx=0 buffer=1 iui=0
/* localReadsVacancy: latencyLeft 3 */
s_waitcnt lgkmcnt(1)                               // lgkmcnt=0 vmcnt=-1wait for prior local read local write old=0, new=1 newLW=0 newLR=1
v_mfma_f32_16x16x1_4b_f32 a[0+0:15+0], v[vgprValuA_X0_I0+0+0+0], v[vgprG2LB+26+0], a[0:15]
/* numPrefetchIter=0 */
/* dataAtIterA=25 numReadsIterA=27 skipReadsIterA=1 readsPerIterA=1 */
/* dataAtIterB=25 numReadsIterB=27 skipReadsIterB=1 readsPerIterB=1 */


/* iter 27 */

/*  grEndMfmaIndex:6, lwStartMfmaIndex:22, lwEndMfmaIndex:29  */
/*  numMfmaForLR:0, barrierMfmaIndex:31, LocalWritePerMfma:0.165 */
/*  mfmaIndex:27  */
_ds_load_b32 v[vgprValuA_X0_I0+0], v[vgprLocalReadAddrA] offset:3584 // L -> Reg lro=896 swapByteOffset=0 ti=16 vIdx=0 rIdx=0 oIdx=0 buffer=0 iui=0
/* localReadsVacancy: latencyLeft 3 */
s_waitcnt lgkmcnt(1)                               // lgkmcnt=0 vmcnt=-1wait for prior local read local write old=0, new=1 newLW=0 newLR=1
v_mfma_f32_16x16x1_4b_f32 a[0+0:15+0], v[vgprValuA_X1_I0+0+0+0], v[vgprG2LB+27+0], a[0:15]
/* numPrefetchIter=0 */
/* dataAtIterA=26 numReadsIterA=28 skipReadsIterA=1 readsPerIterA=1 */
/* dataAtIterB=26 numReadsIterB=28 skipReadsIterB=1 readsPerIterB=1 */


/* iter 28 */

/*  grEndMfmaIndex:6, lwStartMfmaIndex:22, lwEndMfmaIndex:29  */
/*  numMfmaForLR:0, barrierMfmaIndex:31, LocalWritePerMfma:0.165 */
/*  mfmaIndex:28  */
_ds_load_b32 v[vgprValuA_X1_I0+0], v[vgprLocalReadAddrA] offset:3712 // L -> Reg lro=928 swapByteOffset=0 ti=16 vIdx=0 rIdx=0 oIdx=0 buffer=1 iui=0
/* sched write - iter 28 writesPerItem=1 */
s_waitcnt vmcnt(0)                                 // lgkmcnt=-1 vmcnt=0wait for global read before writing to local
_ds_store_b32 v[vgprLocalWriteAddrA], v[vgprG2LA+1] offset:6144 // lwoA_0_0_1_0 = (0*LSCA) + (1*LSPA)(*MT0I+PAD) = 6144
s_waitcnt lgkmcnt(2)                               // lgkmcnt=0 vmcnt=-1wait for prior local read local write old=0, new=2 newLW=1 newLR=1
v_mfma_f32_16x16x1_4b_f32 a[0+0:15+0], v[vgprValuA_X0_I0+0+0+0], v[vgprG2LB+28+0], a[0:15]
/* numPrefetchIter=0 */
/* dataAtIterA=27 numReadsIterA=29 skipReadsIterA=1 readsPerIterA=1 */
/* dataAtIterB=27 numReadsIterB=29 skipReadsIterB=1 readsPerIterB=1 */


/* iter 29 (swap and reset local write pointers iteration)  */

/*  grEndMfmaIndex:6, lwStartMfmaIndex:22, lwEndMfmaIndex:29  */
/*  numMfmaForLR:0, barrierMfmaIndex:31, LocalWritePerMfma:0.165 */
/*  mfmaIndex:29  */
_ds_load_b32 v[vgprValuA_X0_I0+0], v[vgprLocalReadAddrA] offset:3840 // L -> Reg lro=960 swapByteOffset=0 ti=16 vIdx=0 rIdx=0 oIdx=0 buffer=0 iui=0
/* localReadsVacancy: latencyLeft 3 */
_buffer_load_b32 v[vgprG2LA+1], v[vgprGlobalReadOffsetA+1], s[sgprSrdA:sgprSrdA+3], 0, offen offset:0 // G -> Reg 0_0_1_0

/* local write swap offsets a */

/* (EPS=1) local write swap internal offset -> 0 */

/* local write swap offsets b */

/* (EPS=1) local write swap internal offset -> 0 */
s_waitcnt lgkmcnt(2)                               // lgkmcnt=0 vmcnt=-1wait for prior local read local write old=0, new=2 newLW=1 newLR=1
v_mfma_f32_16x16x1_4b_f32 a[0+0:15+0], v[vgprValuA_X1_I0+0+0+0], v[vgprG2LB+29+0], a[0:15]
/* numPrefetchIter=0 */
/* dataAtIterA=28 numReadsIterA=30 skipReadsIterA=1 readsPerIterA=1 */
/* dataAtIterB=28 numReadsIterB=30 skipReadsIterB=1 readsPerIterB=1 */


/* iter 30 (reset local read pointers iteration)  (swap local read pointers iteration)  */

/*  grEndMfmaIndex:6, lwStartMfmaIndex:22, lwEndMfmaIndex:29  */
/*  numMfmaForLR:0, barrierMfmaIndex:31, LocalWritePerMfma:0.165 */
/*  mfmaIndex:30  */
_ds_load_b32 v[vgprValuA_X1_I0+0], v[vgprLocalReadAddrA] offset:3968 // L -> Reg lro=992 swapByteOffset=0 ti=16 vIdx=0 rIdx=0 oIdx=0 buffer=1 iui=0
/* localReadsVacancy: latencyLeft 3 */

/* local read swap offsets a */

/* local read swap internal offset -> 4096 */

/* local read swap offsets b */

/* local read init pointers a */

/* localReadInitPointers */

/* local read init pointers b */
s_waitcnt lgkmcnt(1)                               // lgkmcnt=0 vmcnt=-1wait for prior local read local write old=0, new=1 newLW=0 newLR=1
v_mfma_f32_16x16x1_4b_f32 a[0+0:15+0], v[vgprValuA_X0_I0+0+0+0], v[vgprG2LB+30+0], a[0:15]
/* numPrefetchIter=0 */
/* dataAtIterA=29 numReadsIterA=31 skipReadsIterA=1 readsPerIterA=1 */
/* dataAtIterB=29 numReadsIterB=31 skipReadsIterB=1 readsPerIterB=1 */


/* iter 31 */

/*  grEndMfmaIndex:6, lwStartMfmaIndex:22, lwEndMfmaIndex:29  */
/*  numMfmaForLR:0, barrierMfmaIndex:31, LocalWritePerMfma:0.165 */
/*  mfmaIndex:31  */
s_waitcnt lgkmcnt(0)                               // lgkmcnt=0 vmcnt=-13wait for local write
s_barrier
_ds_load_b32 v[vgprValuA_X0_I0+0], v[vgprLocalReadAddrA] offset:4096 // L -> Reg lro=0 swapByteOffset=4096 ti=16 vIdx=0 rIdx=0 oIdx=0 buffer=0 iui=0
s_waitcnt lgkmcnt(1)                               // lgkmcnt=0 vmcnt=-1wait for prior local read local write old=0, new=1 newLW=0 newLR=1
v_mfma_f32_16x16x1_4b_f32 a[0+0:15+0], v[vgprValuA_X1_I0+0+0+0], v[vgprG2LB+31+0], a[0:15]
_buffer_load_b32 v[vgprG2LB0+0], v[vgprGlobalReadOffsetB+0], s[sgprSrdB:sgprSrdB+3], 0, offen offset:0 // G -> Reg 0_0_0_0
_buffer_load_b32 v[vgprG2LB0+1], v[vgprGlobalReadOffsetB+1], s[sgprSrdB:sgprSrdB+3], 0, offen offset:0 // G -> Reg 0_0_1_0
_buffer_load_b32 v[vgprG2LB0+2], v[vgprGlobalReadOffsetB+2], s[sgprSrdB:sgprSrdB+3], 0, offen offset:0 // G -> Reg 0_0_2_0
_buffer_load_b32 v[vgprG2LB0+3], v[vgprGlobalReadOffsetB+3], s[sgprSrdB:sgprSrdB+3], 0, offen offset:0 // G -> Reg 0_0_3_0
_buffer_load_b32 v[vgprG2LB0+4], v[vgprGlobalReadOffsetB+4], s[sgprSrdB:sgprSrdB+3], 0, offen offset:0 // G -> Reg 0_0_4_0
_buffer_load_b32 v[vgprG2LB0+5], v[vgprGlobalReadOffsetB+5], s[sgprSrdB:sgprSrdB+3], 0, offen offset:0 // G -> Reg 0_0_5_0
_buffer_load_b32 v[vgprG2LB0+6], v[vgprGlobalReadOffsetB+6], s[sgprSrdB:sgprSrdB+3], 0, offen offset:0 // G -> Reg 0_0_6_0
_buffer_load_b32 v[vgprG2LB0+7], v[vgprGlobalReadOffsetB+7], s[sgprSrdB:sgprSrdB+3], 0, offen offset:0 // G -> Reg 0_0_7_0
_buffer_load_b32 v[vgprG2LB0+8], v[vgprGlobalReadOffsetB+8], s[sgprSrdB:sgprSrdB+3], 0, offen offset:0 // G -> Reg 0_0_8_0
_buffer_load_b32 v[vgprG2LB0+9], v[vgprGlobalReadOffsetB+9], s[sgprSrdB:sgprSrdB+3], 0, offen offset:0 // G -> Reg 0_0_9_0
_buffer_load_b32 v[vgprG2LB0+10], v[vgprGlobalReadOffsetB+10], s[sgprSrdB:sgprSrdB+3], 0, offen offset:0 // G -> Reg 0_0_10_0
_buffer_load_b32 v[vgprG2LB0+11], v[vgprGlobalReadOffsetB+11], s[sgprSrdB:sgprSrdB+3], 0, offen offset:0 // G -> Reg 0_0_11_0
_buffer_load_b32 v[vgprG2LB0+12], v[vgprGlobalReadOffsetB+12], s[sgprSrdB:sgprSrdB+3], 0, offen offset:0 // G -> Reg 0_0_12_0
_buffer_load_b32 v[vgprG2LB0+13], v[vgprGlobalReadOffsetB+13], s[sgprSrdB:sgprSrdB+3], 0, offen offset:0 // G -> Reg 0_0_13_0
_buffer_load_b32 v[vgprG2LB0+14], v[vgprGlobalReadOffsetB+14], s[sgprSrdB:sgprSrdB+3], 0, offen offset:0 // G -> Reg 0_0_14_0
_buffer_load_b32 v[vgprG2LB0+15], v[vgprGlobalReadOffsetB+15], s[sgprSrdB:sgprSrdB+3], 0, offen offset:0 // G -> Reg 0_0_15_0
_buffer_load_b32 v[vgprG2LB0+16], v[vgprGlobalReadOffsetB+16], s[sgprSrdB:sgprSrdB+3], 0, offen offset:0 // G -> Reg 0_0_16_0
_buffer_load_b32 v[vgprG2LB0+17], v[vgprGlobalReadOffsetB+17], s[sgprSrdB:sgprSrdB+3], 0, offen offset:0 // G -> Reg 0_0_17_0
_buffer_load_b32 v[vgprG2LB0+18], v[vgprGlobalReadOffsetB+18], s[sgprSrdB:sgprSrdB+3], 0, offen offset:0 // G -> Reg 0_0_18_0
_buffer_load_b32 v[vgprG2LB0+19], v[vgprGlobalReadOffsetB+19], s[sgprSrdB:sgprSrdB+3], 0, offen offset:0 // G -> Reg 0_0_19_0
_buffer_load_b32 v[vgprG2LB0+20], v[vgprGlobalReadOffsetB+20], s[sgprSrdB:sgprSrdB+3], 0, offen offset:0 // G -> Reg 0_0_20_0
_buffer_load_b32 v[vgprG2LB0+21], v[vgprGlobalReadOffsetB+21], s[sgprSrdB:sgprSrdB+3], 0, offen offset:0 // G -> Reg 0_0_21_0
_buffer_load_b32 v[vgprG2LB0+22], v[vgprGlobalReadOffsetB+22], s[sgprSrdB:sgprSrdB+3], 0, offen offset:0 // G -> Reg 0_0_22_0
_buffer_load_b32 v[vgprG2LB0+23], v[vgprGlobalReadOffsetB+23], s[sgprSrdB:sgprSrdB+3], 0, offen offset:0 // G -> Reg 0_0_23_0
_buffer_load_b32 v[vgprG2LB0+24], v[vgprGlobalReadOffsetB+24], s[sgprSrdB:sgprSrdB+3], 0, offen offset:0 // G -> Reg 0_0_24_0
_buffer_load_b32 v[vgprG2LB0+25], v[vgprGlobalReadOffsetB+25], s[sgprSrdB:sgprSrdB+3], 0, offen offset:0 // G -> Reg 0_0_25_0
_buffer_load_b32 v[vgprG2LB0+26], v[vgprGlobalReadOffsetB+26], s[sgprSrdB:sgprSrdB+3], 0, offen offset:0 // G -> Reg 0_0_26_0
_buffer_load_b32 v[vgprG2LB0+27], v[vgprGlobalReadOffsetB+27], s[sgprSrdB:sgprSrdB+3], 0, offen offset:0 // G -> Reg 0_0_27_0
_buffer_load_b32 v[vgprG2LB0+28], v[vgprGlobalReadOffsetB+28], s[sgprSrdB:sgprSrdB+3], 0, offen offset:0 // G -> Reg 0_0_28_0
_buffer_load_b32 v[vgprG2LB0+29], v[vgprGlobalReadOffsetB+29], s[sgprSrdB:sgprSrdB+3], 0, offen offset:0 // G -> Reg 0_0_29_0
_buffer_load_b32 v[vgprG2LB0+30], v[vgprGlobalReadOffsetB+30], s[sgprSrdB:sgprSrdB+3], 0, offen offset:0 // G -> Reg 0_0_30_0
_buffer_load_b32 v[vgprG2LB0+31], v[vgprGlobalReadOffsetB+31], s[sgprSrdB:sgprSrdB+3], 0, offen offset:0 // G -> Reg 0_0_31_0
/* numPrefetchIter=1 */
/* dataAtIterA=30 numReadsIterA=31 skipReadsIterA=1 readsPerIterA=1 */
/* dataAtIterB=30 numReadsIterB=31 skipReadsIterB=1 readsPerIterB=1 */


/******************************************/
/* Unrolled Loop - End 1/2                */
/******************************************/


/* closeLoop loopL finalLoop=0 tailLoop=0 */
s_sub_u32 s[sgprLoopCounterL], s[sgprLoopCounterL], 1 // dec counterL
s_cmp_eq_i32 s[sgprLoopCounterL], 0x2              // counterL==2
s_cbranch_scc1 LoopEndL_oddexit_3                  // exit LoopL


/******************************************/
/* Unrolled Loop 2/2 - Begin              */
/******************************************/

label_0016: // LoopCopy2 


/* Begin Each Unroll: Check VGPR.checkin for INT8 LW */


	;; [unrolled: 1-line block ×3, first 2 shown]
/* iter 0 */

s_waitcnt vmcnt(63)                                // lgkmcnt=-1 vmcnt=63global read wait for DirectToVgpr

/*  grEndMfmaIndex:6, lwStartMfmaIndex:22, lwEndMfmaIndex:29  */
/*  numMfmaForLR:0, barrierMfmaIndex:31, LocalWritePerMfma:0.165 */
/*  mfmaIndex:0  */
_ds_load_b32 v[vgprValuA_X1_I0+0], v[vgprLocalReadAddrA] offset:4224 // L -> Reg lro=32 swapByteOffset=4096 ti=16 vIdx=0 rIdx=0 oIdx=0 buffer=1 iui=0
/* localReadsVacancy: latencyLeft 3 */
s_waitcnt lgkmcnt(1)                               // lgkmcnt=0 vmcnt=-1wait for prior local read local write old=0, new=1 newLW=0 newLR=1
v_mfma_f32_16x16x1_4b_f32 a[0+0:15+0], v[vgprValuA_X0_I0+0+0+0], v[vgprG2LB+32+0], a[0:15]
/* numPrefetchIter=0 */
/* dataAtIterA=-1 numReadsIterA=1 skipReadsIterA=1 readsPerIterA=1 */
/* dataAtIterB=-1 numReadsIterB=1 skipReadsIterB=1 readsPerIterB=1 */


/* iter 1 */

s_waitcnt vmcnt(63)                                // lgkmcnt=-1 vmcnt=63global read wait for DirectToVgpr

/*  grEndMfmaIndex:6, lwStartMfmaIndex:22, lwEndMfmaIndex:29  */
/*  numMfmaForLR:0, barrierMfmaIndex:31, LocalWritePerMfma:0.165 */
/*  mfmaIndex:1  */
_ds_load_b32 v[vgprValuA_X0_I0+0], v[vgprLocalReadAddrA] offset:4352 // L -> Reg lro=64 swapByteOffset=4096 ti=16 vIdx=0 rIdx=0 oIdx=0 buffer=0 iui=0
/* localReadsVacancy: latencyLeft 3 */

/* global read inc A loopL */
s_cmp_eq_u32 s[sgprLoopCounterL], s[sgprStaggerUIter] // Is this the wrapIter?
s_cselect_b32 s56, s[sgprWrapUA+0], s[sgprGlobalReadIncsA+0] // incLower <- ?
s_cselect_b32 s57, s[sgprWrapUA+1], 0              // incUpper <- ?
s_waitcnt lgkmcnt(1)                               // lgkmcnt=0 vmcnt=-1wait for prior local read local write old=0, new=1 newLW=0 newLR=1
v_mfma_f32_16x16x1_4b_f32 a[0+0:15+0], v[vgprValuA_X1_I0+0+0+0], v[vgprG2LB+33+0], a[0:15]
/* numPrefetchIter=0 */
/* dataAtIterA=0 numReadsIterA=2 skipReadsIterA=1 readsPerIterA=1 */
/* dataAtIterB=0 numReadsIterB=2 skipReadsIterB=1 readsPerIterB=1 */


/* iter 2 */

s_waitcnt vmcnt(63)                                // lgkmcnt=-1 vmcnt=63global read wait for DirectToVgpr

/*  grEndMfmaIndex:6, lwStartMfmaIndex:22, lwEndMfmaIndex:29  */
/*  numMfmaForLR:0, barrierMfmaIndex:31, LocalWritePerMfma:0.165 */
/*  mfmaIndex:2  */
_ds_load_b32 v[vgprValuA_X1_I0+0], v[vgprLocalReadAddrA] offset:4480 // L -> Reg lro=96 swapByteOffset=4096 ti=16 vIdx=0 rIdx=0 oIdx=0 buffer=1 iui=0
/* localReadsVacancy: latencyLeft 3 */
s_add_u32 s[sgprSrdA+0], s[sgprSrdA+0], s56        // gra SRD += inc(lower)
s_addc_u32  s[sgprSrdA+1], s[sgprSrdA+1], s57      // gra SRD += inc(upper)
s_sub_u32 s[sgprShadowLimitA+0], s[sgprShadowLimitA+0], s56 // limit -= inc)
s_waitcnt lgkmcnt(1)                               // lgkmcnt=0 vmcnt=-1wait for prior local read local write old=0, new=1 newLW=0 newLR=1
v_mfma_f32_16x16x1_4b_f32 a[0+0:15+0], v[vgprValuA_X0_I0+0+0+0], v[vgprG2LB+34+0], a[0:15]
/* numPrefetchIter=0 */
/* dataAtIterA=1 numReadsIterA=3 skipReadsIterA=1 readsPerIterA=1 */
/* dataAtIterB=1 numReadsIterB=3 skipReadsIterB=1 readsPerIterB=1 */


/* iter 3 */

s_waitcnt vmcnt(62)                                // lgkmcnt=-1 vmcnt=62global read wait for DirectToVgpr

/*  grEndMfmaIndex:6, lwStartMfmaIndex:22, lwEndMfmaIndex:29  */
/*  numMfmaForLR:0, barrierMfmaIndex:31, LocalWritePerMfma:0.165 */
/*  mfmaIndex:3  */
_ds_load_b32 v[vgprValuA_X0_I0+0], v[vgprLocalReadAddrA] offset:4608 // L -> Reg lro=128 swapByteOffset=4096 ti=16 vIdx=0 rIdx=0 oIdx=0 buffer=0 iui=0
/* localReadsVacancy: latencyLeft 3 */
s_subb_u32 s[sgprShadowLimitA+1], s[sgprShadowLimitA+1], s57 // limit -= inc)
s_cmp_eq_u32 s[sgprShadowLimitA+1], 0              // are we within 2^32?
s_cselect_b32 s[sgprSrdA+2], s[sgprShadowLimitA+0], BufferLimitA // Move shadow to real if we are within 2^32
s_waitcnt lgkmcnt(1)                               // lgkmcnt=0 vmcnt=-1wait for prior local read local write old=0, new=1 newLW=0 newLR=1
v_mfma_f32_16x16x1_4b_f32 a[0+0:15+0], v[vgprValuA_X1_I0+0+0+0], v[vgprG2LB+35+0], a[0:15]
/* numPrefetchIter=0 */
/* dataAtIterA=2 numReadsIterA=4 skipReadsIterA=1 readsPerIterA=1 */
/* dataAtIterB=2 numReadsIterB=4 skipReadsIterB=1 readsPerIterB=1 */


/* iter 4 */

s_waitcnt vmcnt(61)                                // lgkmcnt=-1 vmcnt=61global read wait for DirectToVgpr

/*  grEndMfmaIndex:6, lwStartMfmaIndex:22, lwEndMfmaIndex:29  */
/*  numMfmaForLR:0, barrierMfmaIndex:31, LocalWritePerMfma:0.165 */
/*  mfmaIndex:4  */
_ds_load_b32 v[vgprValuA_X1_I0+0], v[vgprLocalReadAddrA] offset:4736 // L -> Reg lro=160 swapByteOffset=4096 ti=16 vIdx=0 rIdx=0 oIdx=0 buffer=1 iui=0
/* localReadsVacancy: latencyLeft 3 */

/* global read inc B loopL */
s_cmp_eq_u32 s[sgprLoopCounterL], s[sgprStaggerUIter] // Is this the wrapIter?
s_cselect_b32 s56, s[sgprWrapUB+0], s[sgprGlobalReadIncsB+0] // incLower <- ?
s_cselect_b32 s57, s[sgprWrapUB+1], 0              // incUpper <- ?
s_waitcnt lgkmcnt(1)                               // lgkmcnt=0 vmcnt=-1wait for prior local read local write old=0, new=1 newLW=0 newLR=1
v_mfma_f32_16x16x1_4b_f32 a[0+0:15+0], v[vgprValuA_X0_I0+0+0+0], v[vgprG2LB+36+0], a[0:15]
/* numPrefetchIter=0 */
/* dataAtIterA=3 numReadsIterA=5 skipReadsIterA=1 readsPerIterA=1 */
/* dataAtIterB=3 numReadsIterB=5 skipReadsIterB=1 readsPerIterB=1 */


/* iter 5 */

s_waitcnt vmcnt(60)                                // lgkmcnt=-1 vmcnt=60global read wait for DirectToVgpr

/*  grEndMfmaIndex:6, lwStartMfmaIndex:22, lwEndMfmaIndex:29  */
/*  numMfmaForLR:0, barrierMfmaIndex:31, LocalWritePerMfma:0.165 */
/*  mfmaIndex:5  */
_ds_load_b32 v[vgprValuA_X0_I0+0], v[vgprLocalReadAddrA] offset:4864 // L -> Reg lro=192 swapByteOffset=4096 ti=16 vIdx=0 rIdx=0 oIdx=0 buffer=0 iui=0
/* localReadsVacancy: latencyLeft 3 */
s_add_u32 s[sgprSrdB+0], s[sgprSrdB+0], s56        // gra SRD += inc(lower)
s_addc_u32  s[sgprSrdB+1], s[sgprSrdB+1], s57      // gra SRD += inc(upper)
s_sub_u32 s[sgprShadowLimitB+0], s[sgprShadowLimitB+0], s56 // limit -= inc)
s_waitcnt lgkmcnt(1)                               // lgkmcnt=0 vmcnt=-1wait for prior local read local write old=0, new=1 newLW=0 newLR=1
v_mfma_f32_16x16x1_4b_f32 a[0+0:15+0], v[vgprValuA_X1_I0+0+0+0], v[vgprG2LB+37+0], a[0:15]
/* numPrefetchIter=0 */
/* dataAtIterA=4 numReadsIterA=6 skipReadsIterA=1 readsPerIterA=1 */
/* dataAtIterB=4 numReadsIterB=6 skipReadsIterB=1 readsPerIterB=1 */


/* iter 6 */

s_waitcnt vmcnt(59)                                // lgkmcnt=-1 vmcnt=59global read wait for DirectToVgpr

/*  grEndMfmaIndex:6, lwStartMfmaIndex:22, lwEndMfmaIndex:29  */
/*  numMfmaForLR:0, barrierMfmaIndex:31, LocalWritePerMfma:0.165 */
/*  mfmaIndex:6  */
_ds_load_b32 v[vgprValuA_X1_I0+0], v[vgprLocalReadAddrA] offset:4992 // L -> Reg lro=224 swapByteOffset=4096 ti=16 vIdx=0 rIdx=0 oIdx=0 buffer=1 iui=0
/* localReadsVacancy: latencyLeft 3 */
s_subb_u32 s[sgprShadowLimitB+1], s[sgprShadowLimitB+1], s57 // limit -= inc)
s_cmp_eq_u32 s[sgprShadowLimitB+1], 0              // are we within 2^32?
s_cselect_b32 s[sgprSrdB+2], s[sgprShadowLimitB+0], BufferLimitB // Move shadow to real if we are within 2^32
s_waitcnt lgkmcnt(1)                               // lgkmcnt=0 vmcnt=-1wait for prior local read local write old=0, new=1 newLW=0 newLR=1
v_mfma_f32_16x16x1_4b_f32 a[0+0:15+0], v[vgprValuA_X0_I0+0+0+0], v[vgprG2LB+38+0], a[0:15]
/* numPrefetchIter=0 */
/* dataAtIterA=5 numReadsIterA=7 skipReadsIterA=1 readsPerIterA=1 */
/* dataAtIterB=5 numReadsIterB=7 skipReadsIterB=1 readsPerIterB=1 */


/* iter 7 */

s_waitcnt vmcnt(58)                                // lgkmcnt=-1 vmcnt=58global read wait for DirectToVgpr

/*  grEndMfmaIndex:6, lwStartMfmaIndex:22, lwEndMfmaIndex:29  */
/*  numMfmaForLR:0, barrierMfmaIndex:31, LocalWritePerMfma:0.165 */
/*  mfmaIndex:7  */
_ds_load_b32 v[vgprValuA_X0_I0+0], v[vgprLocalReadAddrA] offset:5120 // L -> Reg lro=256 swapByteOffset=4096 ti=16 vIdx=0 rIdx=0 oIdx=0 buffer=0 iui=0
/* localReadsVacancy: latencyLeft 3 */
s_waitcnt lgkmcnt(1)                               // lgkmcnt=0 vmcnt=-1wait for prior local read local write old=0, new=1 newLW=0 newLR=1
v_mfma_f32_16x16x1_4b_f32 a[0+0:15+0], v[vgprValuA_X1_I0+0+0+0], v[vgprG2LB+39+0], a[0:15]
/* numPrefetchIter=0 */
/* dataAtIterA=6 numReadsIterA=8 skipReadsIterA=1 readsPerIterA=1 */
/* dataAtIterB=6 numReadsIterB=8 skipReadsIterB=1 readsPerIterB=1 */


/* iter 8 */

s_waitcnt vmcnt(57)                                // lgkmcnt=-1 vmcnt=57global read wait for DirectToVgpr

/*  grEndMfmaIndex:6, lwStartMfmaIndex:22, lwEndMfmaIndex:29  */
/*  numMfmaForLR:0, barrierMfmaIndex:31, LocalWritePerMfma:0.165 */
/*  mfmaIndex:8  */
_ds_load_b32 v[vgprValuA_X1_I0+0], v[vgprLocalReadAddrA] offset:5248 // L -> Reg lro=288 swapByteOffset=4096 ti=16 vIdx=0 rIdx=0 oIdx=0 buffer=1 iui=0
/* localReadsVacancy: latencyLeft 3 */
s_waitcnt lgkmcnt(1)                               // lgkmcnt=0 vmcnt=-1wait for prior local read local write old=0, new=1 newLW=0 newLR=1
v_mfma_f32_16x16x1_4b_f32 a[0+0:15+0], v[vgprValuA_X0_I0+0+0+0], v[vgprG2LB+40+0], a[0:15]
/* numPrefetchIter=0 */
/* dataAtIterA=7 numReadsIterA=9 skipReadsIterA=1 readsPerIterA=1 */
/* dataAtIterB=7 numReadsIterB=9 skipReadsIterB=1 readsPerIterB=1 */


/* iter 9 */

s_waitcnt vmcnt(56)                                // lgkmcnt=-1 vmcnt=56global read wait for DirectToVgpr

/*  grEndMfmaIndex:6, lwStartMfmaIndex:22, lwEndMfmaIndex:29  */
/*  numMfmaForLR:0, barrierMfmaIndex:31, LocalWritePerMfma:0.165 */
/*  mfmaIndex:9  */
_ds_load_b32 v[vgprValuA_X0_I0+0], v[vgprLocalReadAddrA] offset:5376 // L -> Reg lro=320 swapByteOffset=4096 ti=16 vIdx=0 rIdx=0 oIdx=0 buffer=0 iui=0
/* localReadsVacancy: latencyLeft 3 */
s_waitcnt lgkmcnt(1)                               // lgkmcnt=0 vmcnt=-1wait for prior local read local write old=0, new=1 newLW=0 newLR=1
v_mfma_f32_16x16x1_4b_f32 a[0+0:15+0], v[vgprValuA_X1_I0+0+0+0], v[vgprG2LB+41+0], a[0:15]
/* numPrefetchIter=0 */
/* dataAtIterA=8 numReadsIterA=10 skipReadsIterA=1 readsPerIterA=1 */
/* dataAtIterB=8 numReadsIterB=10 skipReadsIterB=1 readsPerIterB=1 */


/* iter 10 */

s_waitcnt vmcnt(55)                                // lgkmcnt=-1 vmcnt=55global read wait for DirectToVgpr

/*  grEndMfmaIndex:6, lwStartMfmaIndex:22, lwEndMfmaIndex:29  */
/*  numMfmaForLR:0, barrierMfmaIndex:31, LocalWritePerMfma:0.165 */
/*  mfmaIndex:10  */
_ds_load_b32 v[vgprValuA_X1_I0+0], v[vgprLocalReadAddrA] offset:5504 // L -> Reg lro=352 swapByteOffset=4096 ti=16 vIdx=0 rIdx=0 oIdx=0 buffer=1 iui=0
/* localReadsVacancy: latencyLeft 3 */
s_waitcnt lgkmcnt(1)                               // lgkmcnt=0 vmcnt=-1wait for prior local read local write old=0, new=1 newLW=0 newLR=1
v_mfma_f32_16x16x1_4b_f32 a[0+0:15+0], v[vgprValuA_X0_I0+0+0+0], v[vgprG2LB+42+0], a[0:15]
/* numPrefetchIter=0 */
/* dataAtIterA=9 numReadsIterA=11 skipReadsIterA=1 readsPerIterA=1 */
/* dataAtIterB=9 numReadsIterB=11 skipReadsIterB=1 readsPerIterB=1 */


/* iter 11 */

s_waitcnt vmcnt(54)                                // lgkmcnt=-1 vmcnt=54global read wait for DirectToVgpr

/*  grEndMfmaIndex:6, lwStartMfmaIndex:22, lwEndMfmaIndex:29  */
/*  numMfmaForLR:0, barrierMfmaIndex:31, LocalWritePerMfma:0.165 */
/*  mfmaIndex:11  */
_ds_load_b32 v[vgprValuA_X0_I0+0], v[vgprLocalReadAddrA] offset:5632 // L -> Reg lro=384 swapByteOffset=4096 ti=16 vIdx=0 rIdx=0 oIdx=0 buffer=0 iui=0
/* localReadsVacancy: latencyLeft 3 */
s_waitcnt lgkmcnt(1)                               // lgkmcnt=0 vmcnt=-1wait for prior local read local write old=0, new=1 newLW=0 newLR=1
v_mfma_f32_16x16x1_4b_f32 a[0+0:15+0], v[vgprValuA_X1_I0+0+0+0], v[vgprG2LB+43+0], a[0:15]
/* numPrefetchIter=0 */
/* dataAtIterA=10 numReadsIterA=12 skipReadsIterA=1 readsPerIterA=1 */
/* dataAtIterB=10 numReadsIterB=12 skipReadsIterB=1 readsPerIterB=1 */


/* iter 12 */

s_waitcnt vmcnt(53)                                // lgkmcnt=-1 vmcnt=53global read wait for DirectToVgpr

/*  grEndMfmaIndex:6, lwStartMfmaIndex:22, lwEndMfmaIndex:29  */
/*  numMfmaForLR:0, barrierMfmaIndex:31, LocalWritePerMfma:0.165 */
/*  mfmaIndex:12  */
_ds_load_b32 v[vgprValuA_X1_I0+0], v[vgprLocalReadAddrA] offset:5760 // L -> Reg lro=416 swapByteOffset=4096 ti=16 vIdx=0 rIdx=0 oIdx=0 buffer=1 iui=0
/* localReadsVacancy: latencyLeft 3 */
s_waitcnt lgkmcnt(1)                               // lgkmcnt=0 vmcnt=-1wait for prior local read local write old=0, new=1 newLW=0 newLR=1
v_mfma_f32_16x16x1_4b_f32 a[0+0:15+0], v[vgprValuA_X0_I0+0+0+0], v[vgprG2LB+44+0], a[0:15]
/* numPrefetchIter=0 */
/* dataAtIterA=11 numReadsIterA=13 skipReadsIterA=1 readsPerIterA=1 */
/* dataAtIterB=11 numReadsIterB=13 skipReadsIterB=1 readsPerIterB=1 */


/* iter 13 */

s_waitcnt vmcnt(52)                                // lgkmcnt=-1 vmcnt=52global read wait for DirectToVgpr

/*  grEndMfmaIndex:6, lwStartMfmaIndex:22, lwEndMfmaIndex:29  */
/*  numMfmaForLR:0, barrierMfmaIndex:31, LocalWritePerMfma:0.165 */
/*  mfmaIndex:13  */
_ds_load_b32 v[vgprValuA_X0_I0+0], v[vgprLocalReadAddrA] offset:5888 // L -> Reg lro=448 swapByteOffset=4096 ti=16 vIdx=0 rIdx=0 oIdx=0 buffer=0 iui=0
/* localReadsVacancy: latencyLeft 3 */
s_waitcnt lgkmcnt(1)                               // lgkmcnt=0 vmcnt=-1wait for prior local read local write old=0, new=1 newLW=0 newLR=1
v_mfma_f32_16x16x1_4b_f32 a[0+0:15+0], v[vgprValuA_X1_I0+0+0+0], v[vgprG2LB+45+0], a[0:15]
/* numPrefetchIter=0 */
/* dataAtIterA=12 numReadsIterA=14 skipReadsIterA=1 readsPerIterA=1 */
/* dataAtIterB=12 numReadsIterB=14 skipReadsIterB=1 readsPerIterB=1 */


/* iter 14 */

s_waitcnt vmcnt(51)                                // lgkmcnt=-1 vmcnt=51global read wait for DirectToVgpr

/*  grEndMfmaIndex:6, lwStartMfmaIndex:22, lwEndMfmaIndex:29  */
/*  numMfmaForLR:0, barrierMfmaIndex:31, LocalWritePerMfma:0.165 */
/*  mfmaIndex:14  */
_ds_load_b32 v[vgprValuA_X1_I0+0], v[vgprLocalReadAddrA] offset:6016 // L -> Reg lro=480 swapByteOffset=4096 ti=16 vIdx=0 rIdx=0 oIdx=0 buffer=1 iui=0
/* localReadsVacancy: latencyLeft 3 */
s_waitcnt lgkmcnt(1)                               // lgkmcnt=0 vmcnt=-1wait for prior local read local write old=0, new=1 newLW=0 newLR=1
v_mfma_f32_16x16x1_4b_f32 a[0+0:15+0], v[vgprValuA_X0_I0+0+0+0], v[vgprG2LB+46+0], a[0:15]
/* numPrefetchIter=0 */
/* dataAtIterA=13 numReadsIterA=15 skipReadsIterA=1 readsPerIterA=1 */
/* dataAtIterB=13 numReadsIterB=15 skipReadsIterB=1 readsPerIterB=1 */


/* iter 15 */

s_waitcnt vmcnt(50)                                // lgkmcnt=-1 vmcnt=50global read wait for DirectToVgpr

/*  grEndMfmaIndex:6, lwStartMfmaIndex:22, lwEndMfmaIndex:29  */
/*  numMfmaForLR:0, barrierMfmaIndex:31, LocalWritePerMfma:0.165 */
/*  mfmaIndex:15  */
_ds_load_b32 v[vgprValuA_X0_I0+0], v[vgprLocalReadAddrA] offset:6144 // L -> Reg lro=512 swapByteOffset=4096 ti=16 vIdx=0 rIdx=0 oIdx=0 buffer=0 iui=0
/* localReadsVacancy: latencyLeft 3 */
s_waitcnt lgkmcnt(1)                               // lgkmcnt=0 vmcnt=-1wait for prior local read local write old=0, new=1 newLW=0 newLR=1
v_mfma_f32_16x16x1_4b_f32 a[0+0:15+0], v[vgprValuA_X1_I0+0+0+0], v[vgprG2LB+47+0], a[0:15]
/* numPrefetchIter=0 */
/* dataAtIterA=14 numReadsIterA=16 skipReadsIterA=1 readsPerIterA=1 */
/* dataAtIterB=14 numReadsIterB=16 skipReadsIterB=1 readsPerIterB=1 */


/* iter 16 */

s_waitcnt vmcnt(49)                                // lgkmcnt=-1 vmcnt=49global read wait for DirectToVgpr

/*  grEndMfmaIndex:6, lwStartMfmaIndex:22, lwEndMfmaIndex:29  */
/*  numMfmaForLR:0, barrierMfmaIndex:31, LocalWritePerMfma:0.165 */
/*  mfmaIndex:16  */
_ds_load_b32 v[vgprValuA_X1_I0+0], v[vgprLocalReadAddrA] offset:6272 // L -> Reg lro=544 swapByteOffset=4096 ti=16 vIdx=0 rIdx=0 oIdx=0 buffer=1 iui=0
/* localReadsVacancy: latencyLeft 3 */
s_waitcnt lgkmcnt(1)                               // lgkmcnt=0 vmcnt=-1wait for prior local read local write old=0, new=1 newLW=0 newLR=1
v_mfma_f32_16x16x1_4b_f32 a[0+0:15+0], v[vgprValuA_X0_I0+0+0+0], v[vgprG2LB+48+0], a[0:15]
/* numPrefetchIter=0 */
/* dataAtIterA=15 numReadsIterA=17 skipReadsIterA=1 readsPerIterA=1 */
/* dataAtIterB=15 numReadsIterB=17 skipReadsIterB=1 readsPerIterB=1 */


/* iter 17 */

s_waitcnt vmcnt(48)                                // lgkmcnt=-1 vmcnt=48global read wait for DirectToVgpr

/*  grEndMfmaIndex:6, lwStartMfmaIndex:22, lwEndMfmaIndex:29  */
/*  numMfmaForLR:0, barrierMfmaIndex:31, LocalWritePerMfma:0.165 */
/*  mfmaIndex:17  */
_ds_load_b32 v[vgprValuA_X0_I0+0], v[vgprLocalReadAddrA] offset:6400 // L -> Reg lro=576 swapByteOffset=4096 ti=16 vIdx=0 rIdx=0 oIdx=0 buffer=0 iui=0
/* localReadsVacancy: latencyLeft 3 */
s_waitcnt lgkmcnt(1)                               // lgkmcnt=0 vmcnt=-1wait for prior local read local write old=0, new=1 newLW=0 newLR=1
v_mfma_f32_16x16x1_4b_f32 a[0+0:15+0], v[vgprValuA_X1_I0+0+0+0], v[vgprG2LB+49+0], a[0:15]
/* numPrefetchIter=0 */
/* dataAtIterA=16 numReadsIterA=18 skipReadsIterA=1 readsPerIterA=1 */
/* dataAtIterB=16 numReadsIterB=18 skipReadsIterB=1 readsPerIterB=1 */


/* iter 18 */

s_waitcnt vmcnt(47)                                // lgkmcnt=-1 vmcnt=47global read wait for DirectToVgpr

/*  grEndMfmaIndex:6, lwStartMfmaIndex:22, lwEndMfmaIndex:29  */
/*  numMfmaForLR:0, barrierMfmaIndex:31, LocalWritePerMfma:0.165 */
/*  mfmaIndex:18  */
_ds_load_b32 v[vgprValuA_X1_I0+0], v[vgprLocalReadAddrA] offset:6528 // L -> Reg lro=608 swapByteOffset=4096 ti=16 vIdx=0 rIdx=0 oIdx=0 buffer=1 iui=0
/* localReadsVacancy: latencyLeft 3 */
s_waitcnt lgkmcnt(1)                               // lgkmcnt=0 vmcnt=-1wait for prior local read local write old=0, new=1 newLW=0 newLR=1
v_mfma_f32_16x16x1_4b_f32 a[0+0:15+0], v[vgprValuA_X0_I0+0+0+0], v[vgprG2LB+50+0], a[0:15]
/* numPrefetchIter=0 */
/* dataAtIterA=17 numReadsIterA=19 skipReadsIterA=1 readsPerIterA=1 */
/* dataAtIterB=17 numReadsIterB=19 skipReadsIterB=1 readsPerIterB=1 */


/* iter 19 */

s_waitcnt vmcnt(46)                                // lgkmcnt=-1 vmcnt=46global read wait for DirectToVgpr

/*  grEndMfmaIndex:6, lwStartMfmaIndex:22, lwEndMfmaIndex:29  */
/*  numMfmaForLR:0, barrierMfmaIndex:31, LocalWritePerMfma:0.165 */
/*  mfmaIndex:19  */
_ds_load_b32 v[vgprValuA_X0_I0+0], v[vgprLocalReadAddrA] offset:6656 // L -> Reg lro=640 swapByteOffset=4096 ti=16 vIdx=0 rIdx=0 oIdx=0 buffer=0 iui=0
/* localReadsVacancy: latencyLeft 3 */
s_waitcnt lgkmcnt(1)                               // lgkmcnt=0 vmcnt=-1wait for prior local read local write old=0, new=1 newLW=0 newLR=1
v_mfma_f32_16x16x1_4b_f32 a[0+0:15+0], v[vgprValuA_X1_I0+0+0+0], v[vgprG2LB+51+0], a[0:15]
/* numPrefetchIter=0 */
/* dataAtIterA=18 numReadsIterA=20 skipReadsIterA=1 readsPerIterA=1 */
/* dataAtIterB=18 numReadsIterB=20 skipReadsIterB=1 readsPerIterB=1 */


/* iter 20 */

s_waitcnt vmcnt(45)                                // lgkmcnt=-1 vmcnt=45global read wait for DirectToVgpr

/*  grEndMfmaIndex:6, lwStartMfmaIndex:22, lwEndMfmaIndex:29  */
/*  numMfmaForLR:0, barrierMfmaIndex:31, LocalWritePerMfma:0.165 */
/*  mfmaIndex:20  */
_ds_load_b32 v[vgprValuA_X1_I0+0], v[vgprLocalReadAddrA] offset:6784 // L -> Reg lro=672 swapByteOffset=4096 ti=16 vIdx=0 rIdx=0 oIdx=0 buffer=1 iui=0
/* localReadsVacancy: latencyLeft 3 */
s_waitcnt lgkmcnt(1)                               // lgkmcnt=0 vmcnt=-1wait for prior local read local write old=0, new=1 newLW=0 newLR=1
v_mfma_f32_16x16x1_4b_f32 a[0+0:15+0], v[vgprValuA_X0_I0+0+0+0], v[vgprG2LB+52+0], a[0:15]
/* numPrefetchIter=0 */
/* dataAtIterA=19 numReadsIterA=21 skipReadsIterA=1 readsPerIterA=1 */
/* dataAtIterB=19 numReadsIterB=21 skipReadsIterB=1 readsPerIterB=1 */


/* iter 21 */

s_waitcnt vmcnt(44)                                // lgkmcnt=-1 vmcnt=44global read wait for DirectToVgpr

/*  grEndMfmaIndex:6, lwStartMfmaIndex:22, lwEndMfmaIndex:29  */
/*  numMfmaForLR:0, barrierMfmaIndex:31, LocalWritePerMfma:0.165 */
/*  mfmaIndex:21  */
_ds_load_b32 v[vgprValuA_X0_I0+0], v[vgprLocalReadAddrA] offset:6912 // L -> Reg lro=704 swapByteOffset=4096 ti=16 vIdx=0 rIdx=0 oIdx=0 buffer=0 iui=0
/* localReadsVacancy: latencyLeft 3 */
s_waitcnt lgkmcnt(1)                               // lgkmcnt=0 vmcnt=-1wait for prior local read local write old=0, new=1 newLW=0 newLR=1
v_mfma_f32_16x16x1_4b_f32 a[0+0:15+0], v[vgprValuA_X1_I0+0+0+0], v[vgprG2LB+53+0], a[0:15]
/* numPrefetchIter=0 */
/* dataAtIterA=20 numReadsIterA=22 skipReadsIterA=1 readsPerIterA=1 */
/* dataAtIterB=20 numReadsIterB=22 skipReadsIterB=1 readsPerIterB=1 */


/* iter 22 */

s_waitcnt vmcnt(43)                                // lgkmcnt=-1 vmcnt=43global read wait for DirectToVgpr

/*  grEndMfmaIndex:6, lwStartMfmaIndex:22, lwEndMfmaIndex:29  */
/*  numMfmaForLR:0, barrierMfmaIndex:31, LocalWritePerMfma:0.165 */
/*  mfmaIndex:22  */
_ds_load_b32 v[vgprValuA_X1_I0+0], v[vgprLocalReadAddrA] offset:7040 // L -> Reg lro=736 swapByteOffset=4096 ti=16 vIdx=0 rIdx=0 oIdx=0 buffer=1 iui=0
/* sched write - iter 22 writesPerItem=1 */
s_waitcnt vmcnt(0)                                 // lgkmcnt=-1 vmcnt=0wait for global read before writing to local
_ds_store_b32 v[vgprLocalWriteAddrA], v[vgprG2LA+0] offset:0 // lwoA_0_0_0_0 = (0*LSCA) + (0*LSPA)(*MT0I+PAD) = 0
s_waitcnt lgkmcnt(2)                               // lgkmcnt=0 vmcnt=-1wait for prior local read local write old=0, new=2 newLW=1 newLR=1
v_mfma_f32_16x16x1_4b_f32 a[0+0:15+0], v[vgprValuA_X0_I0+0+0+0], v[vgprG2LB+54+0], a[0:15]
/* numPrefetchIter=0 */
/* dataAtIterA=21 numReadsIterA=23 skipReadsIterA=1 readsPerIterA=1 */
/* dataAtIterB=21 numReadsIterB=23 skipReadsIterB=1 readsPerIterB=1 */


/* iter 23 */

/*  grEndMfmaIndex:6, lwStartMfmaIndex:22, lwEndMfmaIndex:29  */
/*  numMfmaForLR:0, barrierMfmaIndex:31, LocalWritePerMfma:0.165 */
/*  mfmaIndex:23  */
_ds_load_b32 v[vgprValuA_X0_I0+0], v[vgprLocalReadAddrA] offset:7168 // L -> Reg lro=768 swapByteOffset=4096 ti=16 vIdx=0 rIdx=0 oIdx=0 buffer=0 iui=0
/* localReadsVacancy: latencyLeft 3 */
_buffer_load_b32 v[vgprG2LA+0], v[vgprGlobalReadOffsetA+0], s[sgprSrdA:sgprSrdA+3], 0, offen offset:0 // G -> Reg 0_0_0_0
s_waitcnt lgkmcnt(2)                               // lgkmcnt=0 vmcnt=-1wait for prior local read local write old=0, new=2 newLW=1 newLR=1
v_mfma_f32_16x16x1_4b_f32 a[0+0:15+0], v[vgprValuA_X1_I0+0+0+0], v[vgprG2LB+55+0], a[0:15]
/* numPrefetchIter=0 */
/* dataAtIterA=22 numReadsIterA=24 skipReadsIterA=1 readsPerIterA=1 */
/* dataAtIterB=22 numReadsIterB=24 skipReadsIterB=1 readsPerIterB=1 */


/* iter 24 */

/*  grEndMfmaIndex:6, lwStartMfmaIndex:22, lwEndMfmaIndex:29  */
/*  numMfmaForLR:0, barrierMfmaIndex:31, LocalWritePerMfma:0.165 */
/*  mfmaIndex:24  */
_ds_load_b32 v[vgprValuA_X1_I0+0], v[vgprLocalReadAddrA] offset:7296 // L -> Reg lro=800 swapByteOffset=4096 ti=16 vIdx=0 rIdx=0 oIdx=0 buffer=1 iui=0
/* localReadsVacancy: latencyLeft 3 */
s_waitcnt lgkmcnt(1)                               // lgkmcnt=0 vmcnt=-1wait for prior local read local write old=0, new=1 newLW=0 newLR=1
v_mfma_f32_16x16x1_4b_f32 a[0+0:15+0], v[vgprValuA_X0_I0+0+0+0], v[vgprG2LB+56+0], a[0:15]
/* numPrefetchIter=0 */
/* dataAtIterA=23 numReadsIterA=25 skipReadsIterA=1 readsPerIterA=1 */
/* dataAtIterB=23 numReadsIterB=25 skipReadsIterB=1 readsPerIterB=1 */


/* iter 25 */

/*  grEndMfmaIndex:6, lwStartMfmaIndex:22, lwEndMfmaIndex:29  */
/*  numMfmaForLR:0, barrierMfmaIndex:31, LocalWritePerMfma:0.165 */
/*  mfmaIndex:25  */
_ds_load_b32 v[vgprValuA_X0_I0+0], v[vgprLocalReadAddrA] offset:7424 // L -> Reg lro=832 swapByteOffset=4096 ti=16 vIdx=0 rIdx=0 oIdx=0 buffer=0 iui=0
/* localReadsVacancy: latencyLeft 3 */
s_waitcnt lgkmcnt(1)                               // lgkmcnt=0 vmcnt=-1wait for prior local read local write old=0, new=1 newLW=0 newLR=1
v_mfma_f32_16x16x1_4b_f32 a[0+0:15+0], v[vgprValuA_X1_I0+0+0+0], v[vgprG2LB+57+0], a[0:15]
/* numPrefetchIter=0 */
/* dataAtIterA=24 numReadsIterA=26 skipReadsIterA=1 readsPerIterA=1 */
/* dataAtIterB=24 numReadsIterB=26 skipReadsIterB=1 readsPerIterB=1 */


/* iter 26 */

/*  grEndMfmaIndex:6, lwStartMfmaIndex:22, lwEndMfmaIndex:29  */
/*  numMfmaForLR:0, barrierMfmaIndex:31, LocalWritePerMfma:0.165 */
/*  mfmaIndex:26  */
_ds_load_b32 v[vgprValuA_X1_I0+0], v[vgprLocalReadAddrA] offset:7552 // L -> Reg lro=864 swapByteOffset=4096 ti=16 vIdx=0 rIdx=0 oIdx=0 buffer=1 iui=0
/* localReadsVacancy: latencyLeft 3 */
s_waitcnt lgkmcnt(1)                               // lgkmcnt=0 vmcnt=-1wait for prior local read local write old=0, new=1 newLW=0 newLR=1
v_mfma_f32_16x16x1_4b_f32 a[0+0:15+0], v[vgprValuA_X0_I0+0+0+0], v[vgprG2LB+58+0], a[0:15]
/* numPrefetchIter=0 */
/* dataAtIterA=25 numReadsIterA=27 skipReadsIterA=1 readsPerIterA=1 */
/* dataAtIterB=25 numReadsIterB=27 skipReadsIterB=1 readsPerIterB=1 */


/* iter 27 */

/*  grEndMfmaIndex:6, lwStartMfmaIndex:22, lwEndMfmaIndex:29  */
/*  numMfmaForLR:0, barrierMfmaIndex:31, LocalWritePerMfma:0.165 */
/*  mfmaIndex:27  */
_ds_load_b32 v[vgprValuA_X0_I0+0], v[vgprLocalReadAddrA] offset:7680 // L -> Reg lro=896 swapByteOffset=4096 ti=16 vIdx=0 rIdx=0 oIdx=0 buffer=0 iui=0
/* localReadsVacancy: latencyLeft 3 */
s_waitcnt lgkmcnt(1)                               // lgkmcnt=0 vmcnt=-1wait for prior local read local write old=0, new=1 newLW=0 newLR=1
v_mfma_f32_16x16x1_4b_f32 a[0+0:15+0], v[vgprValuA_X1_I0+0+0+0], v[vgprG2LB+59+0], a[0:15]
/* numPrefetchIter=0 */
/* dataAtIterA=26 numReadsIterA=28 skipReadsIterA=1 readsPerIterA=1 */
/* dataAtIterB=26 numReadsIterB=28 skipReadsIterB=1 readsPerIterB=1 */


/* iter 28 */

/*  grEndMfmaIndex:6, lwStartMfmaIndex:22, lwEndMfmaIndex:29  */
/*  numMfmaForLR:0, barrierMfmaIndex:31, LocalWritePerMfma:0.165 */
/*  mfmaIndex:28  */
_ds_load_b32 v[vgprValuA_X1_I0+0], v[vgprLocalReadAddrA] offset:7808 // L -> Reg lro=928 swapByteOffset=4096 ti=16 vIdx=0 rIdx=0 oIdx=0 buffer=1 iui=0
/* sched write - iter 28 writesPerItem=1 */
s_waitcnt vmcnt(0)                                 // lgkmcnt=-1 vmcnt=0wait for global read before writing to local
_ds_store_b32 v[vgprLocalWriteAddrA], v[vgprG2LA+1] offset:2048 // lwoA_0_0_1_0 = (0*LSCA) + (1*LSPA)(*MT0I+PAD) = 2048
s_waitcnt lgkmcnt(2)                               // lgkmcnt=0 vmcnt=-1wait for prior local read local write old=0, new=2 newLW=1 newLR=1
v_mfma_f32_16x16x1_4b_f32 a[0+0:15+0], v[vgprValuA_X0_I0+0+0+0], v[vgprG2LB+60+0], a[0:15]
/* numPrefetchIter=0 */
/* dataAtIterA=27 numReadsIterA=29 skipReadsIterA=1 readsPerIterA=1 */
/* dataAtIterB=27 numReadsIterB=29 skipReadsIterB=1 readsPerIterB=1 */


/* iter 29 (swap and reset local write pointers iteration)  */

/*  grEndMfmaIndex:6, lwStartMfmaIndex:22, lwEndMfmaIndex:29  */
/*  numMfmaForLR:0, barrierMfmaIndex:31, LocalWritePerMfma:0.165 */
/*  mfmaIndex:29  */
_ds_load_b32 v[vgprValuA_X0_I0+0], v[vgprLocalReadAddrA] offset:7936 // L -> Reg lro=960 swapByteOffset=4096 ti=16 vIdx=0 rIdx=0 oIdx=0 buffer=0 iui=0
/* localReadsVacancy: latencyLeft 3 */
_buffer_load_b32 v[vgprG2LA+1], v[vgprGlobalReadOffsetA+1], s[sgprSrdA:sgprSrdA+3], 0, offen offset:0 // G -> Reg 0_0_1_0

/* local write swap offsets a */

/* (EPS=1) local write swap internal offset -> 4096 */

/* local write swap offsets b */

/* (EPS=1) local write swap internal offset -> 4096 */
s_waitcnt lgkmcnt(2)                               // lgkmcnt=0 vmcnt=-1wait for prior local read local write old=0, new=2 newLW=1 newLR=1
v_mfma_f32_16x16x1_4b_f32 a[0+0:15+0], v[vgprValuA_X1_I0+0+0+0], v[vgprG2LB+61+0], a[0:15]
/* numPrefetchIter=0 */
/* dataAtIterA=28 numReadsIterA=30 skipReadsIterA=1 readsPerIterA=1 */
/* dataAtIterB=28 numReadsIterB=30 skipReadsIterB=1 readsPerIterB=1 */


/* iter 30 (reset local read pointers iteration)  (swap local read pointers iteration)  */

/*  grEndMfmaIndex:6, lwStartMfmaIndex:22, lwEndMfmaIndex:29  */
/*  numMfmaForLR:0, barrierMfmaIndex:31, LocalWritePerMfma:0.165 */
/*  mfmaIndex:30  */
_ds_load_b32 v[vgprValuA_X1_I0+0], v[vgprLocalReadAddrA] offset:8064 // L -> Reg lro=992 swapByteOffset=4096 ti=16 vIdx=0 rIdx=0 oIdx=0 buffer=1 iui=0
/* localReadsVacancy: latencyLeft 3 */

/* local read swap offsets a */

/* local read swap internal offset -> 0 */

/* local read swap offsets b */

/* local read init pointers a */

/* localReadInitPointers */

/* local read init pointers b */
s_waitcnt lgkmcnt(1)                               // lgkmcnt=0 vmcnt=-1wait for prior local read local write old=0, new=1 newLW=0 newLR=1
v_mfma_f32_16x16x1_4b_f32 a[0+0:15+0], v[vgprValuA_X0_I0+0+0+0], v[vgprG2LB+62+0], a[0:15]
/* numPrefetchIter=0 */
/* dataAtIterA=29 numReadsIterA=31 skipReadsIterA=1 readsPerIterA=1 */
/* dataAtIterB=29 numReadsIterB=31 skipReadsIterB=1 readsPerIterB=1 */


/* iter 31 */

/*  grEndMfmaIndex:6, lwStartMfmaIndex:22, lwEndMfmaIndex:29  */
/*  numMfmaForLR:0, barrierMfmaIndex:31, LocalWritePerMfma:0.165 */
/*  mfmaIndex:31  */
s_waitcnt lgkmcnt(0)                               // lgkmcnt=0 vmcnt=-13wait for local write
s_barrier
_ds_load_b32 v[vgprValuA_X0_I0+0], v[vgprLocalReadAddrA] offset:0 // L -> Reg lro=0 swapByteOffset=0 ti=16 vIdx=0 rIdx=0 oIdx=0 buffer=0 iui=0
s_waitcnt lgkmcnt(1)                               // lgkmcnt=0 vmcnt=-1wait for prior local read local write old=0, new=1 newLW=0 newLR=1
v_mfma_f32_16x16x1_4b_f32 a[0+0:15+0], v[vgprValuA_X1_I0+0+0+0], v[vgprG2LB+63+0], a[0:15]
_buffer_load_b32 v[vgprG2LB1+0], v[vgprGlobalReadOffsetB+0], s[sgprSrdB:sgprSrdB+3], 0, offen offset:0 // G -> Reg 0_0_0_0
_buffer_load_b32 v[vgprG2LB1+1], v[vgprGlobalReadOffsetB+1], s[sgprSrdB:sgprSrdB+3], 0, offen offset:0 // G -> Reg 0_0_1_0
_buffer_load_b32 v[vgprG2LB1+2], v[vgprGlobalReadOffsetB+2], s[sgprSrdB:sgprSrdB+3], 0, offen offset:0 // G -> Reg 0_0_2_0
_buffer_load_b32 v[vgprG2LB1+3], v[vgprGlobalReadOffsetB+3], s[sgprSrdB:sgprSrdB+3], 0, offen offset:0 // G -> Reg 0_0_3_0
_buffer_load_b32 v[vgprG2LB1+4], v[vgprGlobalReadOffsetB+4], s[sgprSrdB:sgprSrdB+3], 0, offen offset:0 // G -> Reg 0_0_4_0
_buffer_load_b32 v[vgprG2LB1+5], v[vgprGlobalReadOffsetB+5], s[sgprSrdB:sgprSrdB+3], 0, offen offset:0 // G -> Reg 0_0_5_0
_buffer_load_b32 v[vgprG2LB1+6], v[vgprGlobalReadOffsetB+6], s[sgprSrdB:sgprSrdB+3], 0, offen offset:0 // G -> Reg 0_0_6_0
_buffer_load_b32 v[vgprG2LB1+7], v[vgprGlobalReadOffsetB+7], s[sgprSrdB:sgprSrdB+3], 0, offen offset:0 // G -> Reg 0_0_7_0
_buffer_load_b32 v[vgprG2LB1+8], v[vgprGlobalReadOffsetB+8], s[sgprSrdB:sgprSrdB+3], 0, offen offset:0 // G -> Reg 0_0_8_0
_buffer_load_b32 v[vgprG2LB1+9], v[vgprGlobalReadOffsetB+9], s[sgprSrdB:sgprSrdB+3], 0, offen offset:0 // G -> Reg 0_0_9_0
_buffer_load_b32 v[vgprG2LB1+10], v[vgprGlobalReadOffsetB+10], s[sgprSrdB:sgprSrdB+3], 0, offen offset:0 // G -> Reg 0_0_10_0
_buffer_load_b32 v[vgprG2LB1+11], v[vgprGlobalReadOffsetB+11], s[sgprSrdB:sgprSrdB+3], 0, offen offset:0 // G -> Reg 0_0_11_0
_buffer_load_b32 v[vgprG2LB1+12], v[vgprGlobalReadOffsetB+12], s[sgprSrdB:sgprSrdB+3], 0, offen offset:0 // G -> Reg 0_0_12_0
_buffer_load_b32 v[vgprG2LB1+13], v[vgprGlobalReadOffsetB+13], s[sgprSrdB:sgprSrdB+3], 0, offen offset:0 // G -> Reg 0_0_13_0
_buffer_load_b32 v[vgprG2LB1+14], v[vgprGlobalReadOffsetB+14], s[sgprSrdB:sgprSrdB+3], 0, offen offset:0 // G -> Reg 0_0_14_0
_buffer_load_b32 v[vgprG2LB1+15], v[vgprGlobalReadOffsetB+15], s[sgprSrdB:sgprSrdB+3], 0, offen offset:0 // G -> Reg 0_0_15_0
_buffer_load_b32 v[vgprG2LB1+16], v[vgprGlobalReadOffsetB+16], s[sgprSrdB:sgprSrdB+3], 0, offen offset:0 // G -> Reg 0_0_16_0
_buffer_load_b32 v[vgprG2LB1+17], v[vgprGlobalReadOffsetB+17], s[sgprSrdB:sgprSrdB+3], 0, offen offset:0 // G -> Reg 0_0_17_0
_buffer_load_b32 v[vgprG2LB1+18], v[vgprGlobalReadOffsetB+18], s[sgprSrdB:sgprSrdB+3], 0, offen offset:0 // G -> Reg 0_0_18_0
_buffer_load_b32 v[vgprG2LB1+19], v[vgprGlobalReadOffsetB+19], s[sgprSrdB:sgprSrdB+3], 0, offen offset:0 // G -> Reg 0_0_19_0
_buffer_load_b32 v[vgprG2LB1+20], v[vgprGlobalReadOffsetB+20], s[sgprSrdB:sgprSrdB+3], 0, offen offset:0 // G -> Reg 0_0_20_0
_buffer_load_b32 v[vgprG2LB1+21], v[vgprGlobalReadOffsetB+21], s[sgprSrdB:sgprSrdB+3], 0, offen offset:0 // G -> Reg 0_0_21_0
_buffer_load_b32 v[vgprG2LB1+22], v[vgprGlobalReadOffsetB+22], s[sgprSrdB:sgprSrdB+3], 0, offen offset:0 // G -> Reg 0_0_22_0
_buffer_load_b32 v[vgprG2LB1+23], v[vgprGlobalReadOffsetB+23], s[sgprSrdB:sgprSrdB+3], 0, offen offset:0 // G -> Reg 0_0_23_0
_buffer_load_b32 v[vgprG2LB1+24], v[vgprGlobalReadOffsetB+24], s[sgprSrdB:sgprSrdB+3], 0, offen offset:0 // G -> Reg 0_0_24_0
_buffer_load_b32 v[vgprG2LB1+25], v[vgprGlobalReadOffsetB+25], s[sgprSrdB:sgprSrdB+3], 0, offen offset:0 // G -> Reg 0_0_25_0
_buffer_load_b32 v[vgprG2LB1+26], v[vgprGlobalReadOffsetB+26], s[sgprSrdB:sgprSrdB+3], 0, offen offset:0 // G -> Reg 0_0_26_0
_buffer_load_b32 v[vgprG2LB1+27], v[vgprGlobalReadOffsetB+27], s[sgprSrdB:sgprSrdB+3], 0, offen offset:0 // G -> Reg 0_0_27_0
_buffer_load_b32 v[vgprG2LB1+28], v[vgprGlobalReadOffsetB+28], s[sgprSrdB:sgprSrdB+3], 0, offen offset:0 // G -> Reg 0_0_28_0
_buffer_load_b32 v[vgprG2LB1+29], v[vgprGlobalReadOffsetB+29], s[sgprSrdB:sgprSrdB+3], 0, offen offset:0 // G -> Reg 0_0_29_0
_buffer_load_b32 v[vgprG2LB1+30], v[vgprGlobalReadOffsetB+30], s[sgprSrdB:sgprSrdB+3], 0, offen offset:0 // G -> Reg 0_0_30_0
_buffer_load_b32 v[vgprG2LB1+31], v[vgprGlobalReadOffsetB+31], s[sgprSrdB:sgprSrdB+3], 0, offen offset:0 // G -> Reg 0_0_31_0
/* numPrefetchIter=1 */
/* dataAtIterA=30 numReadsIterA=31 skipReadsIterA=1 readsPerIterA=1 */
/* dataAtIterB=30 numReadsIterB=31 skipReadsIterB=1 readsPerIterB=1 */


/******************************************/
/* Unrolled Loop - End 2/2 (final)        */
/******************************************/


/* closeLoop loopL finalLoop=1 tailLoop=0 */
s_sub_u32 s[sgprLoopCounterL], s[sgprLoopCounterL], 1 // dec counterL
s_cmp_eq_i32 s[sgprLoopCounterL], 0x2              // counterL==2
s_cbranch_scc0 LoopBeginL_1                        // restart LoopL
LoopEndL_evenexit_4: // unroll loop eveniter exit
v_xor_b32 v[vgprLocalWriteAddrA+0], 0x1000, v[vgprLocalWriteAddrA+0] // swap Red Blk

/* (EPS=1) local write swap internal offset -> 0 */

/* (EPS=1) local write swap internal offset -> 0 */
s_branch LoopEndL_2                                // exit unroll loopL (and skip second exit code)
LoopEndL_oddexit_3: // unroll loop odditer exit

/* Select high bank of LDS */
v_xor_b32 v[vgprLocalReadAddrA], 0x1000, v[vgprLocalReadAddrA] // swap Red Blk
LoopEndL_2:


/* Before NLL: Check VGPR.checkin for INT8 LW */


/******************************************/
/* Ord. NoGlobalLoadLoop - Begin                                      */
/******************************************/


s_and_b32 s56, s[sgprOrigLoopCounter], 1           // test if OrigLoopCounter is Odd ?
s_cbranch_scc0 label_0017                          // Skip odd code if OrigLoopCounter is Even


/* iter 0 */

s_waitcnt vmcnt(63)                                // lgkmcnt=-1 vmcnt=63global read wait for DirectToVgpr

/*  grEndMfmaIndex:6, lwStartMfmaIndex:22, lwEndMfmaIndex:29  */
/*  numMfmaForLR:0, barrierMfmaIndex:31, LocalWritePerMfma:0.165 */
/*  mfmaIndex:0  */
_ds_load_b32 v[vgprValuA_X1_I0+0], v[vgprLocalReadAddrA] offset:128 // L -> Reg lro=32 swapByteOffset=0 ti=16 vIdx=0 rIdx=0 oIdx=0 buffer=1 iui=0
/* localReadsVacancy: latencyLeft 3 */
s_waitcnt lgkmcnt(1)                               // lgkmcnt=0 vmcnt=-1wait for prior local read local write old=0, new=1 newLW=0 newLR=1
v_mfma_f32_16x16x1_4b_f32 a[0+0:15+0], v[vgprValuA_X0_I0+0+0+0], v[vgprG2LB+32+0], a[0:15]
/* numPrefetchIter=0 */
/* dataAtIterA=-1 numReadsIterA=1 skipReadsIterA=1 readsPerIterA=1 */
/* dataAtIterB=-1 numReadsIterB=1 skipReadsIterB=1 readsPerIterB=1 */


/* iter 1 */

s_waitcnt vmcnt(63)                                // lgkmcnt=-1 vmcnt=63global read wait for DirectToVgpr

/*  grEndMfmaIndex:6, lwStartMfmaIndex:22, lwEndMfmaIndex:29  */
/*  numMfmaForLR:0, barrierMfmaIndex:31, LocalWritePerMfma:0.165 */
/*  mfmaIndex:1  */
_ds_load_b32 v[vgprValuA_X0_I0+0], v[vgprLocalReadAddrA] offset:256 // L -> Reg lro=64 swapByteOffset=0 ti=16 vIdx=0 rIdx=0 oIdx=0 buffer=0 iui=0
/* localReadsVacancy: latencyLeft 3 */

/* global read inc A loopL */
s_cmp_eq_u32 s[sgprLoopCounterL], s[sgprStaggerUIter] // Is this the wrapIter?
s_cselect_b32 s56, s[sgprWrapUA+0], s[sgprGlobalReadIncsA+0] // incLower <- ?
s_cselect_b32 s57, s[sgprWrapUA+1], 0              // incUpper <- ?
s_waitcnt lgkmcnt(1)                               // lgkmcnt=0 vmcnt=-1wait for prior local read local write old=0, new=1 newLW=0 newLR=1
v_mfma_f32_16x16x1_4b_f32 a[0+0:15+0], v[vgprValuA_X1_I0+0+0+0], v[vgprG2LB+33+0], a[0:15]
/* numPrefetchIter=0 */
/* dataAtIterA=0 numReadsIterA=2 skipReadsIterA=1 readsPerIterA=1 */
/* dataAtIterB=0 numReadsIterB=2 skipReadsIterB=1 readsPerIterB=1 */


/* iter 2 */

s_waitcnt vmcnt(63)                                // lgkmcnt=-1 vmcnt=63global read wait for DirectToVgpr

/*  grEndMfmaIndex:6, lwStartMfmaIndex:22, lwEndMfmaIndex:29  */
/*  numMfmaForLR:0, barrierMfmaIndex:31, LocalWritePerMfma:0.165 */
/*  mfmaIndex:2  */
_ds_load_b32 v[vgprValuA_X1_I0+0], v[vgprLocalReadAddrA] offset:384 // L -> Reg lro=96 swapByteOffset=0 ti=16 vIdx=0 rIdx=0 oIdx=0 buffer=1 iui=0
/* localReadsVacancy: latencyLeft 3 */
s_add_u32 s[sgprSrdA+0], s[sgprSrdA+0], s56        // gra SRD += inc(lower)
s_addc_u32  s[sgprSrdA+1], s[sgprSrdA+1], s57      // gra SRD += inc(upper)
s_sub_u32 s[sgprShadowLimitA+0], s[sgprShadowLimitA+0], s56 // limit -= inc)
s_waitcnt lgkmcnt(1)                               // lgkmcnt=0 vmcnt=-1wait for prior local read local write old=0, new=1 newLW=0 newLR=1
v_mfma_f32_16x16x1_4b_f32 a[0+0:15+0], v[vgprValuA_X0_I0+0+0+0], v[vgprG2LB+34+0], a[0:15]
/* numPrefetchIter=0 */
/* dataAtIterA=1 numReadsIterA=3 skipReadsIterA=1 readsPerIterA=1 */
/* dataAtIterB=1 numReadsIterB=3 skipReadsIterB=1 readsPerIterB=1 */


/* iter 3 */

s_waitcnt vmcnt(62)                                // lgkmcnt=-1 vmcnt=62global read wait for DirectToVgpr

/*  grEndMfmaIndex:6, lwStartMfmaIndex:22, lwEndMfmaIndex:29  */
/*  numMfmaForLR:0, barrierMfmaIndex:31, LocalWritePerMfma:0.165 */
/*  mfmaIndex:3  */
_ds_load_b32 v[vgprValuA_X0_I0+0], v[vgprLocalReadAddrA] offset:512 // L -> Reg lro=128 swapByteOffset=0 ti=16 vIdx=0 rIdx=0 oIdx=0 buffer=0 iui=0
/* localReadsVacancy: latencyLeft 3 */
s_subb_u32 s[sgprShadowLimitA+1], s[sgprShadowLimitA+1], s57 // limit -= inc)
s_cmp_eq_u32 s[sgprShadowLimitA+1], 0              // are we within 2^32?
s_cselect_b32 s[sgprSrdA+2], s[sgprShadowLimitA+0], BufferLimitA // Move shadow to real if we are within 2^32
s_waitcnt lgkmcnt(1)                               // lgkmcnt=0 vmcnt=-1wait for prior local read local write old=0, new=1 newLW=0 newLR=1
v_mfma_f32_16x16x1_4b_f32 a[0+0:15+0], v[vgprValuA_X1_I0+0+0+0], v[vgprG2LB+35+0], a[0:15]
/* numPrefetchIter=0 */
/* dataAtIterA=2 numReadsIterA=4 skipReadsIterA=1 readsPerIterA=1 */
/* dataAtIterB=2 numReadsIterB=4 skipReadsIterB=1 readsPerIterB=1 */


/* iter 4 */

s_waitcnt vmcnt(61)                                // lgkmcnt=-1 vmcnt=61global read wait for DirectToVgpr

/*  grEndMfmaIndex:6, lwStartMfmaIndex:22, lwEndMfmaIndex:29  */
/*  numMfmaForLR:0, barrierMfmaIndex:31, LocalWritePerMfma:0.165 */
/*  mfmaIndex:4  */
_ds_load_b32 v[vgprValuA_X1_I0+0], v[vgprLocalReadAddrA] offset:640 // L -> Reg lro=160 swapByteOffset=0 ti=16 vIdx=0 rIdx=0 oIdx=0 buffer=1 iui=0
/* localReadsVacancy: latencyLeft 3 */

/* global read inc B loopL */
s_cmp_eq_u32 s[sgprLoopCounterL], s[sgprStaggerUIter] // Is this the wrapIter?
s_cselect_b32 s56, s[sgprWrapUB+0], s[sgprGlobalReadIncsB+0] // incLower <- ?
s_cselect_b32 s57, s[sgprWrapUB+1], 0              // incUpper <- ?
s_waitcnt lgkmcnt(1)                               // lgkmcnt=0 vmcnt=-1wait for prior local read local write old=0, new=1 newLW=0 newLR=1
v_mfma_f32_16x16x1_4b_f32 a[0+0:15+0], v[vgprValuA_X0_I0+0+0+0], v[vgprG2LB+36+0], a[0:15]
/* numPrefetchIter=0 */
/* dataAtIterA=3 numReadsIterA=5 skipReadsIterA=1 readsPerIterA=1 */
/* dataAtIterB=3 numReadsIterB=5 skipReadsIterB=1 readsPerIterB=1 */


/* iter 5 */

s_waitcnt vmcnt(60)                                // lgkmcnt=-1 vmcnt=60global read wait for DirectToVgpr

/*  grEndMfmaIndex:6, lwStartMfmaIndex:22, lwEndMfmaIndex:29  */
/*  numMfmaForLR:0, barrierMfmaIndex:31, LocalWritePerMfma:0.165 */
/*  mfmaIndex:5  */
_ds_load_b32 v[vgprValuA_X0_I0+0], v[vgprLocalReadAddrA] offset:768 // L -> Reg lro=192 swapByteOffset=0 ti=16 vIdx=0 rIdx=0 oIdx=0 buffer=0 iui=0
/* localReadsVacancy: latencyLeft 3 */
s_add_u32 s[sgprSrdB+0], s[sgprSrdB+0], s56        // gra SRD += inc(lower)
s_addc_u32  s[sgprSrdB+1], s[sgprSrdB+1], s57      // gra SRD += inc(upper)
s_sub_u32 s[sgprShadowLimitB+0], s[sgprShadowLimitB+0], s56 // limit -= inc)
s_waitcnt lgkmcnt(1)                               // lgkmcnt=0 vmcnt=-1wait for prior local read local write old=0, new=1 newLW=0 newLR=1
v_mfma_f32_16x16x1_4b_f32 a[0+0:15+0], v[vgprValuA_X1_I0+0+0+0], v[vgprG2LB+37+0], a[0:15]
/* numPrefetchIter=0 */
/* dataAtIterA=4 numReadsIterA=6 skipReadsIterA=1 readsPerIterA=1 */
/* dataAtIterB=4 numReadsIterB=6 skipReadsIterB=1 readsPerIterB=1 */


/* iter 6 */

s_waitcnt vmcnt(59)                                // lgkmcnt=-1 vmcnt=59global read wait for DirectToVgpr

/*  grEndMfmaIndex:6, lwStartMfmaIndex:22, lwEndMfmaIndex:29  */
/*  numMfmaForLR:0, barrierMfmaIndex:31, LocalWritePerMfma:0.165 */
/*  mfmaIndex:6  */
_ds_load_b32 v[vgprValuA_X1_I0+0], v[vgprLocalReadAddrA] offset:896 // L -> Reg lro=224 swapByteOffset=0 ti=16 vIdx=0 rIdx=0 oIdx=0 buffer=1 iui=0
/* localReadsVacancy: latencyLeft 3 */
s_subb_u32 s[sgprShadowLimitB+1], s[sgprShadowLimitB+1], s57 // limit -= inc)
s_cmp_eq_u32 s[sgprShadowLimitB+1], 0              // are we within 2^32?
s_cselect_b32 s[sgprSrdB+2], s[sgprShadowLimitB+0], BufferLimitB // Move shadow to real if we are within 2^32
s_waitcnt lgkmcnt(1)                               // lgkmcnt=0 vmcnt=-1wait for prior local read local write old=0, new=1 newLW=0 newLR=1
v_mfma_f32_16x16x1_4b_f32 a[0+0:15+0], v[vgprValuA_X0_I0+0+0+0], v[vgprG2LB+38+0], a[0:15]
/* numPrefetchIter=0 */
/* dataAtIterA=5 numReadsIterA=7 skipReadsIterA=1 readsPerIterA=1 */
/* dataAtIterB=5 numReadsIterB=7 skipReadsIterB=1 readsPerIterB=1 */


/* iter 7 */

s_waitcnt vmcnt(58)                                // lgkmcnt=-1 vmcnt=58global read wait for DirectToVgpr

/*  grEndMfmaIndex:6, lwStartMfmaIndex:22, lwEndMfmaIndex:29  */
/*  numMfmaForLR:0, barrierMfmaIndex:31, LocalWritePerMfma:0.165 */
/*  mfmaIndex:7  */
_ds_load_b32 v[vgprValuA_X0_I0+0], v[vgprLocalReadAddrA] offset:1024 // L -> Reg lro=256 swapByteOffset=0 ti=16 vIdx=0 rIdx=0 oIdx=0 buffer=0 iui=0
/* localReadsVacancy: latencyLeft 3 */
s_waitcnt lgkmcnt(1)                               // lgkmcnt=0 vmcnt=-1wait for prior local read local write old=0, new=1 newLW=0 newLR=1
v_mfma_f32_16x16x1_4b_f32 a[0+0:15+0], v[vgprValuA_X1_I0+0+0+0], v[vgprG2LB+39+0], a[0:15]
/* numPrefetchIter=0 */
/* dataAtIterA=6 numReadsIterA=8 skipReadsIterA=1 readsPerIterA=1 */
/* dataAtIterB=6 numReadsIterB=8 skipReadsIterB=1 readsPerIterB=1 */


/* iter 8 */

s_waitcnt vmcnt(57)                                // lgkmcnt=-1 vmcnt=57global read wait for DirectToVgpr

/*  grEndMfmaIndex:6, lwStartMfmaIndex:22, lwEndMfmaIndex:29  */
/*  numMfmaForLR:0, barrierMfmaIndex:31, LocalWritePerMfma:0.165 */
/*  mfmaIndex:8  */
_ds_load_b32 v[vgprValuA_X1_I0+0], v[vgprLocalReadAddrA] offset:1152 // L -> Reg lro=288 swapByteOffset=0 ti=16 vIdx=0 rIdx=0 oIdx=0 buffer=1 iui=0
/* localReadsVacancy: latencyLeft 3 */
s_waitcnt lgkmcnt(1)                               // lgkmcnt=0 vmcnt=-1wait for prior local read local write old=0, new=1 newLW=0 newLR=1
v_mfma_f32_16x16x1_4b_f32 a[0+0:15+0], v[vgprValuA_X0_I0+0+0+0], v[vgprG2LB+40+0], a[0:15]
/* numPrefetchIter=0 */
/* dataAtIterA=7 numReadsIterA=9 skipReadsIterA=1 readsPerIterA=1 */
/* dataAtIterB=7 numReadsIterB=9 skipReadsIterB=1 readsPerIterB=1 */


/* iter 9 */

s_waitcnt vmcnt(56)                                // lgkmcnt=-1 vmcnt=56global read wait for DirectToVgpr

/*  grEndMfmaIndex:6, lwStartMfmaIndex:22, lwEndMfmaIndex:29  */
/*  numMfmaForLR:0, barrierMfmaIndex:31, LocalWritePerMfma:0.165 */
/*  mfmaIndex:9  */
_ds_load_b32 v[vgprValuA_X0_I0+0], v[vgprLocalReadAddrA] offset:1280 // L -> Reg lro=320 swapByteOffset=0 ti=16 vIdx=0 rIdx=0 oIdx=0 buffer=0 iui=0
/* localReadsVacancy: latencyLeft 3 */
s_waitcnt lgkmcnt(1)                               // lgkmcnt=0 vmcnt=-1wait for prior local read local write old=0, new=1 newLW=0 newLR=1
v_mfma_f32_16x16x1_4b_f32 a[0+0:15+0], v[vgprValuA_X1_I0+0+0+0], v[vgprG2LB+41+0], a[0:15]
/* numPrefetchIter=0 */
/* dataAtIterA=8 numReadsIterA=10 skipReadsIterA=1 readsPerIterA=1 */
/* dataAtIterB=8 numReadsIterB=10 skipReadsIterB=1 readsPerIterB=1 */


/* iter 10 */

s_waitcnt vmcnt(55)                                // lgkmcnt=-1 vmcnt=55global read wait for DirectToVgpr

/*  grEndMfmaIndex:6, lwStartMfmaIndex:22, lwEndMfmaIndex:29  */
/*  numMfmaForLR:0, barrierMfmaIndex:31, LocalWritePerMfma:0.165 */
/*  mfmaIndex:10  */
_ds_load_b32 v[vgprValuA_X1_I0+0], v[vgprLocalReadAddrA] offset:1408 // L -> Reg lro=352 swapByteOffset=0 ti=16 vIdx=0 rIdx=0 oIdx=0 buffer=1 iui=0
/* localReadsVacancy: latencyLeft 3 */
s_waitcnt lgkmcnt(1)                               // lgkmcnt=0 vmcnt=-1wait for prior local read local write old=0, new=1 newLW=0 newLR=1
v_mfma_f32_16x16x1_4b_f32 a[0+0:15+0], v[vgprValuA_X0_I0+0+0+0], v[vgprG2LB+42+0], a[0:15]
/* numPrefetchIter=0 */
/* dataAtIterA=9 numReadsIterA=11 skipReadsIterA=1 readsPerIterA=1 */
/* dataAtIterB=9 numReadsIterB=11 skipReadsIterB=1 readsPerIterB=1 */


/* iter 11 */

s_waitcnt vmcnt(54)                                // lgkmcnt=-1 vmcnt=54global read wait for DirectToVgpr

/*  grEndMfmaIndex:6, lwStartMfmaIndex:22, lwEndMfmaIndex:29  */
/*  numMfmaForLR:0, barrierMfmaIndex:31, LocalWritePerMfma:0.165 */
/*  mfmaIndex:11  */
_ds_load_b32 v[vgprValuA_X0_I0+0], v[vgprLocalReadAddrA] offset:1536 // L -> Reg lro=384 swapByteOffset=0 ti=16 vIdx=0 rIdx=0 oIdx=0 buffer=0 iui=0
/* localReadsVacancy: latencyLeft 3 */
s_waitcnt lgkmcnt(1)                               // lgkmcnt=0 vmcnt=-1wait for prior local read local write old=0, new=1 newLW=0 newLR=1
v_mfma_f32_16x16x1_4b_f32 a[0+0:15+0], v[vgprValuA_X1_I0+0+0+0], v[vgprG2LB+43+0], a[0:15]
/* numPrefetchIter=0 */
/* dataAtIterA=10 numReadsIterA=12 skipReadsIterA=1 readsPerIterA=1 */
/* dataAtIterB=10 numReadsIterB=12 skipReadsIterB=1 readsPerIterB=1 */


/* iter 12 */

s_waitcnt vmcnt(53)                                // lgkmcnt=-1 vmcnt=53global read wait for DirectToVgpr

/*  grEndMfmaIndex:6, lwStartMfmaIndex:22, lwEndMfmaIndex:29  */
/*  numMfmaForLR:0, barrierMfmaIndex:31, LocalWritePerMfma:0.165 */
/*  mfmaIndex:12  */
_ds_load_b32 v[vgprValuA_X1_I0+0], v[vgprLocalReadAddrA] offset:1664 // L -> Reg lro=416 swapByteOffset=0 ti=16 vIdx=0 rIdx=0 oIdx=0 buffer=1 iui=0
/* localReadsVacancy: latencyLeft 3 */
s_waitcnt lgkmcnt(1)                               // lgkmcnt=0 vmcnt=-1wait for prior local read local write old=0, new=1 newLW=0 newLR=1
v_mfma_f32_16x16x1_4b_f32 a[0+0:15+0], v[vgprValuA_X0_I0+0+0+0], v[vgprG2LB+44+0], a[0:15]
/* numPrefetchIter=0 */
/* dataAtIterA=11 numReadsIterA=13 skipReadsIterA=1 readsPerIterA=1 */
/* dataAtIterB=11 numReadsIterB=13 skipReadsIterB=1 readsPerIterB=1 */


/* iter 13 */

s_waitcnt vmcnt(52)                                // lgkmcnt=-1 vmcnt=52global read wait for DirectToVgpr

/*  grEndMfmaIndex:6, lwStartMfmaIndex:22, lwEndMfmaIndex:29  */
/*  numMfmaForLR:0, barrierMfmaIndex:31, LocalWritePerMfma:0.165 */
/*  mfmaIndex:13  */
_ds_load_b32 v[vgprValuA_X0_I0+0], v[vgprLocalReadAddrA] offset:1792 // L -> Reg lro=448 swapByteOffset=0 ti=16 vIdx=0 rIdx=0 oIdx=0 buffer=0 iui=0
/* localReadsVacancy: latencyLeft 3 */
s_waitcnt lgkmcnt(1)                               // lgkmcnt=0 vmcnt=-1wait for prior local read local write old=0, new=1 newLW=0 newLR=1
v_mfma_f32_16x16x1_4b_f32 a[0+0:15+0], v[vgprValuA_X1_I0+0+0+0], v[vgprG2LB+45+0], a[0:15]
/* numPrefetchIter=0 */
/* dataAtIterA=12 numReadsIterA=14 skipReadsIterA=1 readsPerIterA=1 */
/* dataAtIterB=12 numReadsIterB=14 skipReadsIterB=1 readsPerIterB=1 */


/* iter 14 */

s_waitcnt vmcnt(51)                                // lgkmcnt=-1 vmcnt=51global read wait for DirectToVgpr

/*  grEndMfmaIndex:6, lwStartMfmaIndex:22, lwEndMfmaIndex:29  */
/*  numMfmaForLR:0, barrierMfmaIndex:31, LocalWritePerMfma:0.165 */
/*  mfmaIndex:14  */
_ds_load_b32 v[vgprValuA_X1_I0+0], v[vgprLocalReadAddrA] offset:1920 // L -> Reg lro=480 swapByteOffset=0 ti=16 vIdx=0 rIdx=0 oIdx=0 buffer=1 iui=0
/* localReadsVacancy: latencyLeft 3 */
s_waitcnt lgkmcnt(1)                               // lgkmcnt=0 vmcnt=-1wait for prior local read local write old=0, new=1 newLW=0 newLR=1
v_mfma_f32_16x16x1_4b_f32 a[0+0:15+0], v[vgprValuA_X0_I0+0+0+0], v[vgprG2LB+46+0], a[0:15]
/* numPrefetchIter=0 */
/* dataAtIterA=13 numReadsIterA=15 skipReadsIterA=1 readsPerIterA=1 */
/* dataAtIterB=13 numReadsIterB=15 skipReadsIterB=1 readsPerIterB=1 */


/* iter 15 */

s_waitcnt vmcnt(50)                                // lgkmcnt=-1 vmcnt=50global read wait for DirectToVgpr

/*  grEndMfmaIndex:6, lwStartMfmaIndex:22, lwEndMfmaIndex:29  */
/*  numMfmaForLR:0, barrierMfmaIndex:31, LocalWritePerMfma:0.165 */
/*  mfmaIndex:15  */
_ds_load_b32 v[vgprValuA_X0_I0+0], v[vgprLocalReadAddrA] offset:2048 // L -> Reg lro=512 swapByteOffset=0 ti=16 vIdx=0 rIdx=0 oIdx=0 buffer=0 iui=0
/* localReadsVacancy: latencyLeft 3 */
s_waitcnt lgkmcnt(1)                               // lgkmcnt=0 vmcnt=-1wait for prior local read local write old=0, new=1 newLW=0 newLR=1
v_mfma_f32_16x16x1_4b_f32 a[0+0:15+0], v[vgprValuA_X1_I0+0+0+0], v[vgprG2LB+47+0], a[0:15]
/* numPrefetchIter=0 */
/* dataAtIterA=14 numReadsIterA=16 skipReadsIterA=1 readsPerIterA=1 */
/* dataAtIterB=14 numReadsIterB=16 skipReadsIterB=1 readsPerIterB=1 */


/* iter 16 */

s_waitcnt vmcnt(49)                                // lgkmcnt=-1 vmcnt=49global read wait for DirectToVgpr

/*  grEndMfmaIndex:6, lwStartMfmaIndex:22, lwEndMfmaIndex:29  */
/*  numMfmaForLR:0, barrierMfmaIndex:31, LocalWritePerMfma:0.165 */
/*  mfmaIndex:16  */
_ds_load_b32 v[vgprValuA_X1_I0+0], v[vgprLocalReadAddrA] offset:2176 // L -> Reg lro=544 swapByteOffset=0 ti=16 vIdx=0 rIdx=0 oIdx=0 buffer=1 iui=0
/* localReadsVacancy: latencyLeft 3 */
s_waitcnt lgkmcnt(1)                               // lgkmcnt=0 vmcnt=-1wait for prior local read local write old=0, new=1 newLW=0 newLR=1
v_mfma_f32_16x16x1_4b_f32 a[0+0:15+0], v[vgprValuA_X0_I0+0+0+0], v[vgprG2LB+48+0], a[0:15]
/* numPrefetchIter=0 */
/* dataAtIterA=15 numReadsIterA=17 skipReadsIterA=1 readsPerIterA=1 */
/* dataAtIterB=15 numReadsIterB=17 skipReadsIterB=1 readsPerIterB=1 */


/* iter 17 */

s_waitcnt vmcnt(48)                                // lgkmcnt=-1 vmcnt=48global read wait for DirectToVgpr

/*  grEndMfmaIndex:6, lwStartMfmaIndex:22, lwEndMfmaIndex:29  */
/*  numMfmaForLR:0, barrierMfmaIndex:31, LocalWritePerMfma:0.165 */
/*  mfmaIndex:17  */
_ds_load_b32 v[vgprValuA_X0_I0+0], v[vgprLocalReadAddrA] offset:2304 // L -> Reg lro=576 swapByteOffset=0 ti=16 vIdx=0 rIdx=0 oIdx=0 buffer=0 iui=0
/* localReadsVacancy: latencyLeft 3 */
s_waitcnt lgkmcnt(1)                               // lgkmcnt=0 vmcnt=-1wait for prior local read local write old=0, new=1 newLW=0 newLR=1
v_mfma_f32_16x16x1_4b_f32 a[0+0:15+0], v[vgprValuA_X1_I0+0+0+0], v[vgprG2LB+49+0], a[0:15]
/* numPrefetchIter=0 */
/* dataAtIterA=16 numReadsIterA=18 skipReadsIterA=1 readsPerIterA=1 */
/* dataAtIterB=16 numReadsIterB=18 skipReadsIterB=1 readsPerIterB=1 */


/* iter 18 */

s_waitcnt vmcnt(47)                                // lgkmcnt=-1 vmcnt=47global read wait for DirectToVgpr

/*  grEndMfmaIndex:6, lwStartMfmaIndex:22, lwEndMfmaIndex:29  */
/*  numMfmaForLR:0, barrierMfmaIndex:31, LocalWritePerMfma:0.165 */
/*  mfmaIndex:18  */
_ds_load_b32 v[vgprValuA_X1_I0+0], v[vgprLocalReadAddrA] offset:2432 // L -> Reg lro=608 swapByteOffset=0 ti=16 vIdx=0 rIdx=0 oIdx=0 buffer=1 iui=0
/* localReadsVacancy: latencyLeft 3 */
s_waitcnt lgkmcnt(1)                               // lgkmcnt=0 vmcnt=-1wait for prior local read local write old=0, new=1 newLW=0 newLR=1
v_mfma_f32_16x16x1_4b_f32 a[0+0:15+0], v[vgprValuA_X0_I0+0+0+0], v[vgprG2LB+50+0], a[0:15]
/* numPrefetchIter=0 */
/* dataAtIterA=17 numReadsIterA=19 skipReadsIterA=1 readsPerIterA=1 */
/* dataAtIterB=17 numReadsIterB=19 skipReadsIterB=1 readsPerIterB=1 */


/* iter 19 */

s_waitcnt vmcnt(46)                                // lgkmcnt=-1 vmcnt=46global read wait for DirectToVgpr

/*  grEndMfmaIndex:6, lwStartMfmaIndex:22, lwEndMfmaIndex:29  */
/*  numMfmaForLR:0, barrierMfmaIndex:31, LocalWritePerMfma:0.165 */
/*  mfmaIndex:19  */
_ds_load_b32 v[vgprValuA_X0_I0+0], v[vgprLocalReadAddrA] offset:2560 // L -> Reg lro=640 swapByteOffset=0 ti=16 vIdx=0 rIdx=0 oIdx=0 buffer=0 iui=0
/* localReadsVacancy: latencyLeft 3 */
s_waitcnt lgkmcnt(1)                               // lgkmcnt=0 vmcnt=-1wait for prior local read local write old=0, new=1 newLW=0 newLR=1
v_mfma_f32_16x16x1_4b_f32 a[0+0:15+0], v[vgprValuA_X1_I0+0+0+0], v[vgprG2LB+51+0], a[0:15]
/* numPrefetchIter=0 */
/* dataAtIterA=18 numReadsIterA=20 skipReadsIterA=1 readsPerIterA=1 */
/* dataAtIterB=18 numReadsIterB=20 skipReadsIterB=1 readsPerIterB=1 */


/* iter 20 */

s_waitcnt vmcnt(45)                                // lgkmcnt=-1 vmcnt=45global read wait for DirectToVgpr

/*  grEndMfmaIndex:6, lwStartMfmaIndex:22, lwEndMfmaIndex:29  */
/*  numMfmaForLR:0, barrierMfmaIndex:31, LocalWritePerMfma:0.165 */
/*  mfmaIndex:20  */
_ds_load_b32 v[vgprValuA_X1_I0+0], v[vgprLocalReadAddrA] offset:2688 // L -> Reg lro=672 swapByteOffset=0 ti=16 vIdx=0 rIdx=0 oIdx=0 buffer=1 iui=0
/* localReadsVacancy: latencyLeft 3 */
s_waitcnt lgkmcnt(1)                               // lgkmcnt=0 vmcnt=-1wait for prior local read local write old=0, new=1 newLW=0 newLR=1
v_mfma_f32_16x16x1_4b_f32 a[0+0:15+0], v[vgprValuA_X0_I0+0+0+0], v[vgprG2LB+52+0], a[0:15]
/* numPrefetchIter=0 */
/* dataAtIterA=19 numReadsIterA=21 skipReadsIterA=1 readsPerIterA=1 */
/* dataAtIterB=19 numReadsIterB=21 skipReadsIterB=1 readsPerIterB=1 */


/* iter 21 */

s_waitcnt vmcnt(44)                                // lgkmcnt=-1 vmcnt=44global read wait for DirectToVgpr

/*  grEndMfmaIndex:6, lwStartMfmaIndex:22, lwEndMfmaIndex:29  */
/*  numMfmaForLR:0, barrierMfmaIndex:31, LocalWritePerMfma:0.165 */
/*  mfmaIndex:21  */
_ds_load_b32 v[vgprValuA_X0_I0+0], v[vgprLocalReadAddrA] offset:2816 // L -> Reg lro=704 swapByteOffset=0 ti=16 vIdx=0 rIdx=0 oIdx=0 buffer=0 iui=0
/* localReadsVacancy: latencyLeft 3 */
s_waitcnt lgkmcnt(1)                               // lgkmcnt=0 vmcnt=-1wait for prior local read local write old=0, new=1 newLW=0 newLR=1
v_mfma_f32_16x16x1_4b_f32 a[0+0:15+0], v[vgprValuA_X1_I0+0+0+0], v[vgprG2LB+53+0], a[0:15]
/* numPrefetchIter=0 */
/* dataAtIterA=20 numReadsIterA=22 skipReadsIterA=1 readsPerIterA=1 */
/* dataAtIterB=20 numReadsIterB=22 skipReadsIterB=1 readsPerIterB=1 */


/* iter 22 */

s_waitcnt vmcnt(43)                                // lgkmcnt=-1 vmcnt=43global read wait for DirectToVgpr

/*  grEndMfmaIndex:6, lwStartMfmaIndex:22, lwEndMfmaIndex:29  */
/*  numMfmaForLR:0, barrierMfmaIndex:31, LocalWritePerMfma:0.165 */
/*  mfmaIndex:22  */
_ds_load_b32 v[vgprValuA_X1_I0+0], v[vgprLocalReadAddrA] offset:2944 // L -> Reg lro=736 swapByteOffset=0 ti=16 vIdx=0 rIdx=0 oIdx=0 buffer=1 iui=0
/* sched write - iter 22 writesPerItem=1 */
s_waitcnt vmcnt(0)                                 // lgkmcnt=-1 vmcnt=0wait for global read before writing to local
_ds_store_b32 v[vgprLocalWriteAddrA], v[vgprG2LA+0] offset:0 // lwoA_0_0_0_0 = (0*LSCA) + (0*LSPA)(*MT0I+PAD) = 0
s_waitcnt lgkmcnt(2)                               // lgkmcnt=0 vmcnt=-1wait for prior local read local write old=0, new=2 newLW=1 newLR=1
v_mfma_f32_16x16x1_4b_f32 a[0+0:15+0], v[vgprValuA_X0_I0+0+0+0], v[vgprG2LB+54+0], a[0:15]
/* numPrefetchIter=0 */
/* dataAtIterA=21 numReadsIterA=23 skipReadsIterA=1 readsPerIterA=1 */
/* dataAtIterB=21 numReadsIterB=23 skipReadsIterB=1 readsPerIterB=1 */


/* iter 23 */

/*  grEndMfmaIndex:6, lwStartMfmaIndex:22, lwEndMfmaIndex:29  */
/*  numMfmaForLR:0, barrierMfmaIndex:31, LocalWritePerMfma:0.165 */
/*  mfmaIndex:23  */
_ds_load_b32 v[vgprValuA_X0_I0+0], v[vgprLocalReadAddrA] offset:3072 // L -> Reg lro=768 swapByteOffset=0 ti=16 vIdx=0 rIdx=0 oIdx=0 buffer=0 iui=0
/* localReadsVacancy: latencyLeft 3 */
s_waitcnt lgkmcnt(2)                               // lgkmcnt=0 vmcnt=-1wait for prior local read local write old=0, new=2 newLW=1 newLR=1
v_mfma_f32_16x16x1_4b_f32 a[0+0:15+0], v[vgprValuA_X1_I0+0+0+0], v[vgprG2LB+55+0], a[0:15]
/* numPrefetchIter=0 */
/* dataAtIterA=22 numReadsIterA=24 skipReadsIterA=1 readsPerIterA=1 */
/* dataAtIterB=22 numReadsIterB=24 skipReadsIterB=1 readsPerIterB=1 */


/* iter 24 */

s_waitcnt vmcnt(41)                                // lgkmcnt=-1 vmcnt=41global read wait for DirectToVgpr

/*  grEndMfmaIndex:6, lwStartMfmaIndex:22, lwEndMfmaIndex:29  */
/*  numMfmaForLR:0, barrierMfmaIndex:31, LocalWritePerMfma:0.165 */
/*  mfmaIndex:24  */
_ds_load_b32 v[vgprValuA_X1_I0+0], v[vgprLocalReadAddrA] offset:3200 // L -> Reg lro=800 swapByteOffset=0 ti=16 vIdx=0 rIdx=0 oIdx=0 buffer=1 iui=0
/* localReadsVacancy: latencyLeft 3 */
s_waitcnt lgkmcnt(1)                               // lgkmcnt=0 vmcnt=-1wait for prior local read local write old=0, new=1 newLW=0 newLR=1
v_mfma_f32_16x16x1_4b_f32 a[0+0:15+0], v[vgprValuA_X0_I0+0+0+0], v[vgprG2LB+56+0], a[0:15]
/* numPrefetchIter=0 */
/* dataAtIterA=23 numReadsIterA=25 skipReadsIterA=1 readsPerIterA=1 */
/* dataAtIterB=23 numReadsIterB=25 skipReadsIterB=1 readsPerIterB=1 */


/* iter 25 */

s_waitcnt vmcnt(40)                                // lgkmcnt=-1 vmcnt=40global read wait for DirectToVgpr

/*  grEndMfmaIndex:6, lwStartMfmaIndex:22, lwEndMfmaIndex:29  */
/*  numMfmaForLR:0, barrierMfmaIndex:31, LocalWritePerMfma:0.165 */
/*  mfmaIndex:25  */
_ds_load_b32 v[vgprValuA_X0_I0+0], v[vgprLocalReadAddrA] offset:3328 // L -> Reg lro=832 swapByteOffset=0 ti=16 vIdx=0 rIdx=0 oIdx=0 buffer=0 iui=0
/* localReadsVacancy: latencyLeft 3 */
s_waitcnt lgkmcnt(1)                               // lgkmcnt=0 vmcnt=-1wait for prior local read local write old=0, new=1 newLW=0 newLR=1
v_mfma_f32_16x16x1_4b_f32 a[0+0:15+0], v[vgprValuA_X1_I0+0+0+0], v[vgprG2LB+57+0], a[0:15]
/* numPrefetchIter=0 */
/* dataAtIterA=24 numReadsIterA=26 skipReadsIterA=1 readsPerIterA=1 */
/* dataAtIterB=24 numReadsIterB=26 skipReadsIterB=1 readsPerIterB=1 */


/* iter 26 */

s_waitcnt vmcnt(39)                                // lgkmcnt=-1 vmcnt=39global read wait for DirectToVgpr

/*  grEndMfmaIndex:6, lwStartMfmaIndex:22, lwEndMfmaIndex:29  */
/*  numMfmaForLR:0, barrierMfmaIndex:31, LocalWritePerMfma:0.165 */
/*  mfmaIndex:26  */
_ds_load_b32 v[vgprValuA_X1_I0+0], v[vgprLocalReadAddrA] offset:3456 // L -> Reg lro=864 swapByteOffset=0 ti=16 vIdx=0 rIdx=0 oIdx=0 buffer=1 iui=0
/* localReadsVacancy: latencyLeft 3 */
s_waitcnt lgkmcnt(1)                               // lgkmcnt=0 vmcnt=-1wait for prior local read local write old=0, new=1 newLW=0 newLR=1
v_mfma_f32_16x16x1_4b_f32 a[0+0:15+0], v[vgprValuA_X0_I0+0+0+0], v[vgprG2LB+58+0], a[0:15]
/* numPrefetchIter=0 */
/* dataAtIterA=25 numReadsIterA=27 skipReadsIterA=1 readsPerIterA=1 */
/* dataAtIterB=25 numReadsIterB=27 skipReadsIterB=1 readsPerIterB=1 */


/* iter 27 */

s_waitcnt vmcnt(38)                                // lgkmcnt=-1 vmcnt=38global read wait for DirectToVgpr

/*  grEndMfmaIndex:6, lwStartMfmaIndex:22, lwEndMfmaIndex:29  */
/*  numMfmaForLR:0, barrierMfmaIndex:31, LocalWritePerMfma:0.165 */
/*  mfmaIndex:27  */
_ds_load_b32 v[vgprValuA_X0_I0+0], v[vgprLocalReadAddrA] offset:3584 // L -> Reg lro=896 swapByteOffset=0 ti=16 vIdx=0 rIdx=0 oIdx=0 buffer=0 iui=0
/* localReadsVacancy: latencyLeft 3 */
s_waitcnt lgkmcnt(1)                               // lgkmcnt=0 vmcnt=-1wait for prior local read local write old=0, new=1 newLW=0 newLR=1
v_mfma_f32_16x16x1_4b_f32 a[0+0:15+0], v[vgprValuA_X1_I0+0+0+0], v[vgprG2LB+59+0], a[0:15]
/* numPrefetchIter=0 */
/* dataAtIterA=26 numReadsIterA=28 skipReadsIterA=1 readsPerIterA=1 */
/* dataAtIterB=26 numReadsIterB=28 skipReadsIterB=1 readsPerIterB=1 */


/* iter 28 */

s_waitcnt vmcnt(37)                                // lgkmcnt=-1 vmcnt=37global read wait for DirectToVgpr

/*  grEndMfmaIndex:6, lwStartMfmaIndex:22, lwEndMfmaIndex:29  */
/*  numMfmaForLR:0, barrierMfmaIndex:31, LocalWritePerMfma:0.165 */
/*  mfmaIndex:28  */
_ds_load_b32 v[vgprValuA_X1_I0+0], v[vgprLocalReadAddrA] offset:3712 // L -> Reg lro=928 swapByteOffset=0 ti=16 vIdx=0 rIdx=0 oIdx=0 buffer=1 iui=0
/* sched write - iter 28 writesPerItem=1 */
s_waitcnt vmcnt(0)                                 // lgkmcnt=-1 vmcnt=0wait for global read before writing to local
_ds_store_b32 v[vgprLocalWriteAddrA], v[vgprG2LA+1] offset:2048 // lwoA_0_0_1_0 = (0*LSCA) + (1*LSPA)(*MT0I+PAD) = 2048
s_waitcnt lgkmcnt(2)                               // lgkmcnt=0 vmcnt=-1wait for prior local read local write old=0, new=2 newLW=1 newLR=1
v_mfma_f32_16x16x1_4b_f32 a[0+0:15+0], v[vgprValuA_X0_I0+0+0+0], v[vgprG2LB+60+0], a[0:15]
/* numPrefetchIter=0 */
/* dataAtIterA=27 numReadsIterA=29 skipReadsIterA=1 readsPerIterA=1 */
/* dataAtIterB=27 numReadsIterB=29 skipReadsIterB=1 readsPerIterB=1 */


/* iter 29 (swap and reset local write pointers iteration)  */

/*  grEndMfmaIndex:6, lwStartMfmaIndex:22, lwEndMfmaIndex:29  */
/*  numMfmaForLR:0, barrierMfmaIndex:31, LocalWritePerMfma:0.165 */
/*  mfmaIndex:29  */
_ds_load_b32 v[vgprValuA_X0_I0+0], v[vgprLocalReadAddrA] offset:3840 // L -> Reg lro=960 swapByteOffset=0 ti=16 vIdx=0 rIdx=0 oIdx=0 buffer=0 iui=0
/* localReadsVacancy: latencyLeft 3 */

/* local write swap offsets a */

/* (EPS=1) local write swap internal offset -> 4096 */

/* local write swap offsets b */

/* (EPS=1) local write swap internal offset -> 4096 */
s_waitcnt lgkmcnt(2)                               // lgkmcnt=0 vmcnt=-1wait for prior local read local write old=0, new=2 newLW=1 newLR=1
v_mfma_f32_16x16x1_4b_f32 a[0+0:15+0], v[vgprValuA_X1_I0+0+0+0], v[vgprG2LB+61+0], a[0:15]
/* numPrefetchIter=0 */
/* dataAtIterA=28 numReadsIterA=30 skipReadsIterA=1 readsPerIterA=1 */
/* dataAtIterB=28 numReadsIterB=30 skipReadsIterB=1 readsPerIterB=1 */


/* iter 30 (reset local read pointers iteration)  (swap local read pointers iteration)  */

s_waitcnt vmcnt(35)                                // lgkmcnt=-1 vmcnt=35global read wait for DirectToVgpr

/*  grEndMfmaIndex:6, lwStartMfmaIndex:22, lwEndMfmaIndex:29  */
/*  numMfmaForLR:0, barrierMfmaIndex:31, LocalWritePerMfma:0.165 */
/*  mfmaIndex:30  */
_ds_load_b32 v[vgprValuA_X1_I0+0], v[vgprLocalReadAddrA] offset:3968 // L -> Reg lro=992 swapByteOffset=0 ti=16 vIdx=0 rIdx=0 oIdx=0 buffer=1 iui=0
/* localReadsVacancy: latencyLeft 3 */

/* local read swap offsets a */
v_xor_b32 v[vgprLocalReadAddrA], 0x1000, v[vgprLocalReadAddrA] // swap Red Blk

/* local read swap offsets b */

/* local read init pointers a */

/* localReadInitPointers */

/* local read init pointers b */
s_waitcnt lgkmcnt(1)                               // lgkmcnt=0 vmcnt=-1wait for prior local read local write old=0, new=1 newLW=0 newLR=1
v_mfma_f32_16x16x1_4b_f32 a[0+0:15+0], v[vgprValuA_X0_I0+0+0+0], v[vgprG2LB+62+0], a[0:15]
/* numPrefetchIter=0 */
/* dataAtIterA=29 numReadsIterA=31 skipReadsIterA=1 readsPerIterA=1 */
/* dataAtIterB=29 numReadsIterB=31 skipReadsIterB=1 readsPerIterB=1 */


/* iter 31 */

s_waitcnt vmcnt(34)                                // lgkmcnt=-1 vmcnt=34global read wait for DirectToVgpr

/*  grEndMfmaIndex:6, lwStartMfmaIndex:22, lwEndMfmaIndex:29  */
/*  numMfmaForLR:0, barrierMfmaIndex:31, LocalWritePerMfma:0.165 */
/*  mfmaIndex:31  */
s_waitcnt lgkmcnt(0)                               // lgkmcnt=0 vmcnt=-13wait for local write
// Skip force waitcnt0
s_barrier //
_ds_load_b32 v[vgprValuA_X0_I0+0], v[vgprLocalReadAddrA] offset:0 // L -> Reg lro=0 swapByteOffset=0 ti=16 vIdx=0 rIdx=0 oIdx=0 buffer=0 iui=0
s_waitcnt lgkmcnt(1)                               // lgkmcnt=0 vmcnt=-1wait for prior local read local write old=0, new=1 newLW=0 newLR=1
v_mfma_f32_16x16x1_4b_f32 a[0+0:15+0], v[vgprValuA_X1_I0+0+0+0], v[vgprG2LB+63+0], a[0:15]
/* numPrefetchIter=1 */
/* dataAtIterA=30 numReadsIterA=31 skipReadsIterA=1 readsPerIterA=1 */
/* dataAtIterB=30 numReadsIterB=31 skipReadsIterB=1 readsPerIterB=1 */

s_branch label_0018                                // Skip even code
label_0017: // EvenStartNoGlobalLoadLoopOrd 


/* iter 0 */

s_waitcnt vmcnt(63)                                // lgkmcnt=-1 vmcnt=63global read wait for DirectToVgpr

/*  grEndMfmaIndex:6, lwStartMfmaIndex:22, lwEndMfmaIndex:29  */
/*  numMfmaForLR:0, barrierMfmaIndex:31, LocalWritePerMfma:0.165 */
/*  mfmaIndex:0  */
_ds_load_b32 v[vgprValuA_X1_I0+0], v[vgprLocalReadAddrA] offset:128 // L -> Reg lro=32 swapByteOffset=0 ti=16 vIdx=0 rIdx=0 oIdx=0 buffer=1 iui=0
/* localReadsVacancy: latencyLeft 3 */
s_waitcnt lgkmcnt(1)                               // lgkmcnt=0 vmcnt=-1wait for prior local read local write old=0, new=1 newLW=0 newLR=1
v_mfma_f32_16x16x1_4b_f32 a[0+0:15+0], v[vgprValuA_X0_I0+0+0+0], v[vgprG2LB+0+0], a[0:15]
/* numPrefetchIter=0 */
/* dataAtIterA=-1 numReadsIterA=1 skipReadsIterA=1 readsPerIterA=1 */
/* dataAtIterB=-1 numReadsIterB=1 skipReadsIterB=1 readsPerIterB=1 */


/* iter 1 */

s_waitcnt vmcnt(63)                                // lgkmcnt=-1 vmcnt=63global read wait for DirectToVgpr

/*  grEndMfmaIndex:6, lwStartMfmaIndex:22, lwEndMfmaIndex:29  */
/*  numMfmaForLR:0, barrierMfmaIndex:31, LocalWritePerMfma:0.165 */
/*  mfmaIndex:1  */
_ds_load_b32 v[vgprValuA_X0_I0+0], v[vgprLocalReadAddrA] offset:256 // L -> Reg lro=64 swapByteOffset=0 ti=16 vIdx=0 rIdx=0 oIdx=0 buffer=0 iui=0
/* localReadsVacancy: latencyLeft 3 */

/* global read inc A loopL */
s_cmp_eq_u32 s[sgprLoopCounterL], s[sgprStaggerUIter] // Is this the wrapIter?
s_cselect_b32 s56, s[sgprWrapUA+0], s[sgprGlobalReadIncsA+0] // incLower <- ?
s_cselect_b32 s57, s[sgprWrapUA+1], 0              // incUpper <- ?
s_waitcnt lgkmcnt(1)                               // lgkmcnt=0 vmcnt=-1wait for prior local read local write old=0, new=1 newLW=0 newLR=1
v_mfma_f32_16x16x1_4b_f32 a[0+0:15+0], v[vgprValuA_X1_I0+0+0+0], v[vgprG2LB+1+0], a[0:15]
/* numPrefetchIter=0 */
/* dataAtIterA=0 numReadsIterA=2 skipReadsIterA=1 readsPerIterA=1 */
/* dataAtIterB=0 numReadsIterB=2 skipReadsIterB=1 readsPerIterB=1 */


/* iter 2 */

s_waitcnt vmcnt(63)                                // lgkmcnt=-1 vmcnt=63global read wait for DirectToVgpr

/*  grEndMfmaIndex:6, lwStartMfmaIndex:22, lwEndMfmaIndex:29  */
/*  numMfmaForLR:0, barrierMfmaIndex:31, LocalWritePerMfma:0.165 */
/*  mfmaIndex:2  */
_ds_load_b32 v[vgprValuA_X1_I0+0], v[vgprLocalReadAddrA] offset:384 // L -> Reg lro=96 swapByteOffset=0 ti=16 vIdx=0 rIdx=0 oIdx=0 buffer=1 iui=0
/* localReadsVacancy: latencyLeft 3 */
s_add_u32 s[sgprSrdA+0], s[sgprSrdA+0], s56        // gra SRD += inc(lower)
s_addc_u32  s[sgprSrdA+1], s[sgprSrdA+1], s57      // gra SRD += inc(upper)
s_sub_u32 s[sgprShadowLimitA+0], s[sgprShadowLimitA+0], s56 // limit -= inc)
s_waitcnt lgkmcnt(1)                               // lgkmcnt=0 vmcnt=-1wait for prior local read local write old=0, new=1 newLW=0 newLR=1
v_mfma_f32_16x16x1_4b_f32 a[0+0:15+0], v[vgprValuA_X0_I0+0+0+0], v[vgprG2LB+2+0], a[0:15]
/* numPrefetchIter=0 */
/* dataAtIterA=1 numReadsIterA=3 skipReadsIterA=1 readsPerIterA=1 */
/* dataAtIterB=1 numReadsIterB=3 skipReadsIterB=1 readsPerIterB=1 */


/* iter 3 */

s_waitcnt vmcnt(62)                                // lgkmcnt=-1 vmcnt=62global read wait for DirectToVgpr

/*  grEndMfmaIndex:6, lwStartMfmaIndex:22, lwEndMfmaIndex:29  */
/*  numMfmaForLR:0, barrierMfmaIndex:31, LocalWritePerMfma:0.165 */
/*  mfmaIndex:3  */
_ds_load_b32 v[vgprValuA_X0_I0+0], v[vgprLocalReadAddrA] offset:512 // L -> Reg lro=128 swapByteOffset=0 ti=16 vIdx=0 rIdx=0 oIdx=0 buffer=0 iui=0
/* localReadsVacancy: latencyLeft 3 */
s_subb_u32 s[sgprShadowLimitA+1], s[sgprShadowLimitA+1], s57 // limit -= inc)
s_cmp_eq_u32 s[sgprShadowLimitA+1], 0              // are we within 2^32?
s_cselect_b32 s[sgprSrdA+2], s[sgprShadowLimitA+0], BufferLimitA // Move shadow to real if we are within 2^32
s_waitcnt lgkmcnt(1)                               // lgkmcnt=0 vmcnt=-1wait for prior local read local write old=0, new=1 newLW=0 newLR=1
v_mfma_f32_16x16x1_4b_f32 a[0+0:15+0], v[vgprValuA_X1_I0+0+0+0], v[vgprG2LB+3+0], a[0:15]
/* numPrefetchIter=0 */
/* dataAtIterA=2 numReadsIterA=4 skipReadsIterA=1 readsPerIterA=1 */
/* dataAtIterB=2 numReadsIterB=4 skipReadsIterB=1 readsPerIterB=1 */


/* iter 4 */

s_waitcnt vmcnt(61)                                // lgkmcnt=-1 vmcnt=61global read wait for DirectToVgpr

/*  grEndMfmaIndex:6, lwStartMfmaIndex:22, lwEndMfmaIndex:29  */
/*  numMfmaForLR:0, barrierMfmaIndex:31, LocalWritePerMfma:0.165 */
/*  mfmaIndex:4  */
_ds_load_b32 v[vgprValuA_X1_I0+0], v[vgprLocalReadAddrA] offset:640 // L -> Reg lro=160 swapByteOffset=0 ti=16 vIdx=0 rIdx=0 oIdx=0 buffer=1 iui=0
/* localReadsVacancy: latencyLeft 3 */

/* global read inc B loopL */
s_cmp_eq_u32 s[sgprLoopCounterL], s[sgprStaggerUIter] // Is this the wrapIter?
s_cselect_b32 s56, s[sgprWrapUB+0], s[sgprGlobalReadIncsB+0] // incLower <- ?
s_cselect_b32 s57, s[sgprWrapUB+1], 0              // incUpper <- ?
s_waitcnt lgkmcnt(1)                               // lgkmcnt=0 vmcnt=-1wait for prior local read local write old=0, new=1 newLW=0 newLR=1
v_mfma_f32_16x16x1_4b_f32 a[0+0:15+0], v[vgprValuA_X0_I0+0+0+0], v[vgprG2LB+4+0], a[0:15]
/* numPrefetchIter=0 */
/* dataAtIterA=3 numReadsIterA=5 skipReadsIterA=1 readsPerIterA=1 */
/* dataAtIterB=3 numReadsIterB=5 skipReadsIterB=1 readsPerIterB=1 */


/* iter 5 */

s_waitcnt vmcnt(60)                                // lgkmcnt=-1 vmcnt=60global read wait for DirectToVgpr

/*  grEndMfmaIndex:6, lwStartMfmaIndex:22, lwEndMfmaIndex:29  */
/*  numMfmaForLR:0, barrierMfmaIndex:31, LocalWritePerMfma:0.165 */
/*  mfmaIndex:5  */
_ds_load_b32 v[vgprValuA_X0_I0+0], v[vgprLocalReadAddrA] offset:768 // L -> Reg lro=192 swapByteOffset=0 ti=16 vIdx=0 rIdx=0 oIdx=0 buffer=0 iui=0
/* localReadsVacancy: latencyLeft 3 */
s_add_u32 s[sgprSrdB+0], s[sgprSrdB+0], s56        // gra SRD += inc(lower)
s_addc_u32  s[sgprSrdB+1], s[sgprSrdB+1], s57      // gra SRD += inc(upper)
s_sub_u32 s[sgprShadowLimitB+0], s[sgprShadowLimitB+0], s56 // limit -= inc)
s_waitcnt lgkmcnt(1)                               // lgkmcnt=0 vmcnt=-1wait for prior local read local write old=0, new=1 newLW=0 newLR=1
v_mfma_f32_16x16x1_4b_f32 a[0+0:15+0], v[vgprValuA_X1_I0+0+0+0], v[vgprG2LB+5+0], a[0:15]
/* numPrefetchIter=0 */
/* dataAtIterA=4 numReadsIterA=6 skipReadsIterA=1 readsPerIterA=1 */
/* dataAtIterB=4 numReadsIterB=6 skipReadsIterB=1 readsPerIterB=1 */


/* iter 6 */

s_waitcnt vmcnt(59)                                // lgkmcnt=-1 vmcnt=59global read wait for DirectToVgpr

/*  grEndMfmaIndex:6, lwStartMfmaIndex:22, lwEndMfmaIndex:29  */
/*  numMfmaForLR:0, barrierMfmaIndex:31, LocalWritePerMfma:0.165 */
/*  mfmaIndex:6  */
_ds_load_b32 v[vgprValuA_X1_I0+0], v[vgprLocalReadAddrA] offset:896 // L -> Reg lro=224 swapByteOffset=0 ti=16 vIdx=0 rIdx=0 oIdx=0 buffer=1 iui=0
/* localReadsVacancy: latencyLeft 3 */
s_subb_u32 s[sgprShadowLimitB+1], s[sgprShadowLimitB+1], s57 // limit -= inc)
s_cmp_eq_u32 s[sgprShadowLimitB+1], 0              // are we within 2^32?
s_cselect_b32 s[sgprSrdB+2], s[sgprShadowLimitB+0], BufferLimitB // Move shadow to real if we are within 2^32
s_waitcnt lgkmcnt(1)                               // lgkmcnt=0 vmcnt=-1wait for prior local read local write old=0, new=1 newLW=0 newLR=1
v_mfma_f32_16x16x1_4b_f32 a[0+0:15+0], v[vgprValuA_X0_I0+0+0+0], v[vgprG2LB+6+0], a[0:15]
/* numPrefetchIter=0 */
/* dataAtIterA=5 numReadsIterA=7 skipReadsIterA=1 readsPerIterA=1 */
/* dataAtIterB=5 numReadsIterB=7 skipReadsIterB=1 readsPerIterB=1 */


/* iter 7 */

s_waitcnt vmcnt(58)                                // lgkmcnt=-1 vmcnt=58global read wait for DirectToVgpr

/*  grEndMfmaIndex:6, lwStartMfmaIndex:22, lwEndMfmaIndex:29  */
/*  numMfmaForLR:0, barrierMfmaIndex:31, LocalWritePerMfma:0.165 */
/*  mfmaIndex:7  */
_ds_load_b32 v[vgprValuA_X0_I0+0], v[vgprLocalReadAddrA] offset:1024 // L -> Reg lro=256 swapByteOffset=0 ti=16 vIdx=0 rIdx=0 oIdx=0 buffer=0 iui=0
/* localReadsVacancy: latencyLeft 3 */
s_waitcnt lgkmcnt(1)                               // lgkmcnt=0 vmcnt=-1wait for prior local read local write old=0, new=1 newLW=0 newLR=1
v_mfma_f32_16x16x1_4b_f32 a[0+0:15+0], v[vgprValuA_X1_I0+0+0+0], v[vgprG2LB+7+0], a[0:15]
/* numPrefetchIter=0 */
/* dataAtIterA=6 numReadsIterA=8 skipReadsIterA=1 readsPerIterA=1 */
/* dataAtIterB=6 numReadsIterB=8 skipReadsIterB=1 readsPerIterB=1 */


/* iter 8 */

s_waitcnt vmcnt(57)                                // lgkmcnt=-1 vmcnt=57global read wait for DirectToVgpr

/*  grEndMfmaIndex:6, lwStartMfmaIndex:22, lwEndMfmaIndex:29  */
/*  numMfmaForLR:0, barrierMfmaIndex:31, LocalWritePerMfma:0.165 */
/*  mfmaIndex:8  */
_ds_load_b32 v[vgprValuA_X1_I0+0], v[vgprLocalReadAddrA] offset:1152 // L -> Reg lro=288 swapByteOffset=0 ti=16 vIdx=0 rIdx=0 oIdx=0 buffer=1 iui=0
/* localReadsVacancy: latencyLeft 3 */
s_waitcnt lgkmcnt(1)                               // lgkmcnt=0 vmcnt=-1wait for prior local read local write old=0, new=1 newLW=0 newLR=1
v_mfma_f32_16x16x1_4b_f32 a[0+0:15+0], v[vgprValuA_X0_I0+0+0+0], v[vgprG2LB+8+0], a[0:15]
/* numPrefetchIter=0 */
/* dataAtIterA=7 numReadsIterA=9 skipReadsIterA=1 readsPerIterA=1 */
/* dataAtIterB=7 numReadsIterB=9 skipReadsIterB=1 readsPerIterB=1 */


/* iter 9 */

s_waitcnt vmcnt(56)                                // lgkmcnt=-1 vmcnt=56global read wait for DirectToVgpr

/*  grEndMfmaIndex:6, lwStartMfmaIndex:22, lwEndMfmaIndex:29  */
/*  numMfmaForLR:0, barrierMfmaIndex:31, LocalWritePerMfma:0.165 */
/*  mfmaIndex:9  */
_ds_load_b32 v[vgprValuA_X0_I0+0], v[vgprLocalReadAddrA] offset:1280 // L -> Reg lro=320 swapByteOffset=0 ti=16 vIdx=0 rIdx=0 oIdx=0 buffer=0 iui=0
/* localReadsVacancy: latencyLeft 3 */
s_waitcnt lgkmcnt(1)                               // lgkmcnt=0 vmcnt=-1wait for prior local read local write old=0, new=1 newLW=0 newLR=1
v_mfma_f32_16x16x1_4b_f32 a[0+0:15+0], v[vgprValuA_X1_I0+0+0+0], v[vgprG2LB+9+0], a[0:15]
/* numPrefetchIter=0 */
/* dataAtIterA=8 numReadsIterA=10 skipReadsIterA=1 readsPerIterA=1 */
/* dataAtIterB=8 numReadsIterB=10 skipReadsIterB=1 readsPerIterB=1 */


/* iter 10 */

s_waitcnt vmcnt(55)                                // lgkmcnt=-1 vmcnt=55global read wait for DirectToVgpr

/*  grEndMfmaIndex:6, lwStartMfmaIndex:22, lwEndMfmaIndex:29  */
/*  numMfmaForLR:0, barrierMfmaIndex:31, LocalWritePerMfma:0.165 */
/*  mfmaIndex:10  */
_ds_load_b32 v[vgprValuA_X1_I0+0], v[vgprLocalReadAddrA] offset:1408 // L -> Reg lro=352 swapByteOffset=0 ti=16 vIdx=0 rIdx=0 oIdx=0 buffer=1 iui=0
/* localReadsVacancy: latencyLeft 3 */
s_waitcnt lgkmcnt(1)                               // lgkmcnt=0 vmcnt=-1wait for prior local read local write old=0, new=1 newLW=0 newLR=1
v_mfma_f32_16x16x1_4b_f32 a[0+0:15+0], v[vgprValuA_X0_I0+0+0+0], v[vgprG2LB+10+0], a[0:15]
/* numPrefetchIter=0 */
/* dataAtIterA=9 numReadsIterA=11 skipReadsIterA=1 readsPerIterA=1 */
/* dataAtIterB=9 numReadsIterB=11 skipReadsIterB=1 readsPerIterB=1 */


/* iter 11 */

s_waitcnt vmcnt(54)                                // lgkmcnt=-1 vmcnt=54global read wait for DirectToVgpr

/*  grEndMfmaIndex:6, lwStartMfmaIndex:22, lwEndMfmaIndex:29  */
/*  numMfmaForLR:0, barrierMfmaIndex:31, LocalWritePerMfma:0.165 */
/*  mfmaIndex:11  */
_ds_load_b32 v[vgprValuA_X0_I0+0], v[vgprLocalReadAddrA] offset:1536 // L -> Reg lro=384 swapByteOffset=0 ti=16 vIdx=0 rIdx=0 oIdx=0 buffer=0 iui=0
/* localReadsVacancy: latencyLeft 3 */
s_waitcnt lgkmcnt(1)                               // lgkmcnt=0 vmcnt=-1wait for prior local read local write old=0, new=1 newLW=0 newLR=1
v_mfma_f32_16x16x1_4b_f32 a[0+0:15+0], v[vgprValuA_X1_I0+0+0+0], v[vgprG2LB+11+0], a[0:15]
/* numPrefetchIter=0 */
/* dataAtIterA=10 numReadsIterA=12 skipReadsIterA=1 readsPerIterA=1 */
/* dataAtIterB=10 numReadsIterB=12 skipReadsIterB=1 readsPerIterB=1 */


/* iter 12 */

s_waitcnt vmcnt(53)                                // lgkmcnt=-1 vmcnt=53global read wait for DirectToVgpr

/*  grEndMfmaIndex:6, lwStartMfmaIndex:22, lwEndMfmaIndex:29  */
/*  numMfmaForLR:0, barrierMfmaIndex:31, LocalWritePerMfma:0.165 */
/*  mfmaIndex:12  */
_ds_load_b32 v[vgprValuA_X1_I0+0], v[vgprLocalReadAddrA] offset:1664 // L -> Reg lro=416 swapByteOffset=0 ti=16 vIdx=0 rIdx=0 oIdx=0 buffer=1 iui=0
/* localReadsVacancy: latencyLeft 3 */
s_waitcnt lgkmcnt(1)                               // lgkmcnt=0 vmcnt=-1wait for prior local read local write old=0, new=1 newLW=0 newLR=1
v_mfma_f32_16x16x1_4b_f32 a[0+0:15+0], v[vgprValuA_X0_I0+0+0+0], v[vgprG2LB+12+0], a[0:15]
/* numPrefetchIter=0 */
/* dataAtIterA=11 numReadsIterA=13 skipReadsIterA=1 readsPerIterA=1 */
/* dataAtIterB=11 numReadsIterB=13 skipReadsIterB=1 readsPerIterB=1 */


/* iter 13 */

s_waitcnt vmcnt(52)                                // lgkmcnt=-1 vmcnt=52global read wait for DirectToVgpr

/*  grEndMfmaIndex:6, lwStartMfmaIndex:22, lwEndMfmaIndex:29  */
/*  numMfmaForLR:0, barrierMfmaIndex:31, LocalWritePerMfma:0.165 */
/*  mfmaIndex:13  */
_ds_load_b32 v[vgprValuA_X0_I0+0], v[vgprLocalReadAddrA] offset:1792 // L -> Reg lro=448 swapByteOffset=0 ti=16 vIdx=0 rIdx=0 oIdx=0 buffer=0 iui=0
/* localReadsVacancy: latencyLeft 3 */
s_waitcnt lgkmcnt(1)                               // lgkmcnt=0 vmcnt=-1wait for prior local read local write old=0, new=1 newLW=0 newLR=1
v_mfma_f32_16x16x1_4b_f32 a[0+0:15+0], v[vgprValuA_X1_I0+0+0+0], v[vgprG2LB+13+0], a[0:15]
/* numPrefetchIter=0 */
/* dataAtIterA=12 numReadsIterA=14 skipReadsIterA=1 readsPerIterA=1 */
/* dataAtIterB=12 numReadsIterB=14 skipReadsIterB=1 readsPerIterB=1 */


/* iter 14 */

s_waitcnt vmcnt(51)                                // lgkmcnt=-1 vmcnt=51global read wait for DirectToVgpr

/*  grEndMfmaIndex:6, lwStartMfmaIndex:22, lwEndMfmaIndex:29  */
/*  numMfmaForLR:0, barrierMfmaIndex:31, LocalWritePerMfma:0.165 */
/*  mfmaIndex:14  */
_ds_load_b32 v[vgprValuA_X1_I0+0], v[vgprLocalReadAddrA] offset:1920 // L -> Reg lro=480 swapByteOffset=0 ti=16 vIdx=0 rIdx=0 oIdx=0 buffer=1 iui=0
/* localReadsVacancy: latencyLeft 3 */
s_waitcnt lgkmcnt(1)                               // lgkmcnt=0 vmcnt=-1wait for prior local read local write old=0, new=1 newLW=0 newLR=1
v_mfma_f32_16x16x1_4b_f32 a[0+0:15+0], v[vgprValuA_X0_I0+0+0+0], v[vgprG2LB+14+0], a[0:15]
/* numPrefetchIter=0 */
/* dataAtIterA=13 numReadsIterA=15 skipReadsIterA=1 readsPerIterA=1 */
/* dataAtIterB=13 numReadsIterB=15 skipReadsIterB=1 readsPerIterB=1 */


/* iter 15 */

s_waitcnt vmcnt(50)                                // lgkmcnt=-1 vmcnt=50global read wait for DirectToVgpr

/*  grEndMfmaIndex:6, lwStartMfmaIndex:22, lwEndMfmaIndex:29  */
/*  numMfmaForLR:0, barrierMfmaIndex:31, LocalWritePerMfma:0.165 */
/*  mfmaIndex:15  */
_ds_load_b32 v[vgprValuA_X0_I0+0], v[vgprLocalReadAddrA] offset:2048 // L -> Reg lro=512 swapByteOffset=0 ti=16 vIdx=0 rIdx=0 oIdx=0 buffer=0 iui=0
/* localReadsVacancy: latencyLeft 3 */
s_waitcnt lgkmcnt(1)                               // lgkmcnt=0 vmcnt=-1wait for prior local read local write old=0, new=1 newLW=0 newLR=1
v_mfma_f32_16x16x1_4b_f32 a[0+0:15+0], v[vgprValuA_X1_I0+0+0+0], v[vgprG2LB+15+0], a[0:15]
/* numPrefetchIter=0 */
/* dataAtIterA=14 numReadsIterA=16 skipReadsIterA=1 readsPerIterA=1 */
/* dataAtIterB=14 numReadsIterB=16 skipReadsIterB=1 readsPerIterB=1 */


/* iter 16 */

s_waitcnt vmcnt(49)                                // lgkmcnt=-1 vmcnt=49global read wait for DirectToVgpr

/*  grEndMfmaIndex:6, lwStartMfmaIndex:22, lwEndMfmaIndex:29  */
/*  numMfmaForLR:0, barrierMfmaIndex:31, LocalWritePerMfma:0.165 */
/*  mfmaIndex:16  */
_ds_load_b32 v[vgprValuA_X1_I0+0], v[vgprLocalReadAddrA] offset:2176 // L -> Reg lro=544 swapByteOffset=0 ti=16 vIdx=0 rIdx=0 oIdx=0 buffer=1 iui=0
/* localReadsVacancy: latencyLeft 3 */
s_waitcnt lgkmcnt(1)                               // lgkmcnt=0 vmcnt=-1wait for prior local read local write old=0, new=1 newLW=0 newLR=1
v_mfma_f32_16x16x1_4b_f32 a[0+0:15+0], v[vgprValuA_X0_I0+0+0+0], v[vgprG2LB+16+0], a[0:15]
/* numPrefetchIter=0 */
/* dataAtIterA=15 numReadsIterA=17 skipReadsIterA=1 readsPerIterA=1 */
/* dataAtIterB=15 numReadsIterB=17 skipReadsIterB=1 readsPerIterB=1 */


/* iter 17 */

s_waitcnt vmcnt(48)                                // lgkmcnt=-1 vmcnt=48global read wait for DirectToVgpr

/*  grEndMfmaIndex:6, lwStartMfmaIndex:22, lwEndMfmaIndex:29  */
/*  numMfmaForLR:0, barrierMfmaIndex:31, LocalWritePerMfma:0.165 */
/*  mfmaIndex:17  */
_ds_load_b32 v[vgprValuA_X0_I0+0], v[vgprLocalReadAddrA] offset:2304 // L -> Reg lro=576 swapByteOffset=0 ti=16 vIdx=0 rIdx=0 oIdx=0 buffer=0 iui=0
/* localReadsVacancy: latencyLeft 3 */
s_waitcnt lgkmcnt(1)                               // lgkmcnt=0 vmcnt=-1wait for prior local read local write old=0, new=1 newLW=0 newLR=1
v_mfma_f32_16x16x1_4b_f32 a[0+0:15+0], v[vgprValuA_X1_I0+0+0+0], v[vgprG2LB+17+0], a[0:15]
/* numPrefetchIter=0 */
/* dataAtIterA=16 numReadsIterA=18 skipReadsIterA=1 readsPerIterA=1 */
/* dataAtIterB=16 numReadsIterB=18 skipReadsIterB=1 readsPerIterB=1 */


/* iter 18 */

s_waitcnt vmcnt(47)                                // lgkmcnt=-1 vmcnt=47global read wait for DirectToVgpr

/*  grEndMfmaIndex:6, lwStartMfmaIndex:22, lwEndMfmaIndex:29  */
/*  numMfmaForLR:0, barrierMfmaIndex:31, LocalWritePerMfma:0.165 */
/*  mfmaIndex:18  */
_ds_load_b32 v[vgprValuA_X1_I0+0], v[vgprLocalReadAddrA] offset:2432 // L -> Reg lro=608 swapByteOffset=0 ti=16 vIdx=0 rIdx=0 oIdx=0 buffer=1 iui=0
/* localReadsVacancy: latencyLeft 3 */
s_waitcnt lgkmcnt(1)                               // lgkmcnt=0 vmcnt=-1wait for prior local read local write old=0, new=1 newLW=0 newLR=1
v_mfma_f32_16x16x1_4b_f32 a[0+0:15+0], v[vgprValuA_X0_I0+0+0+0], v[vgprG2LB+18+0], a[0:15]
/* numPrefetchIter=0 */
/* dataAtIterA=17 numReadsIterA=19 skipReadsIterA=1 readsPerIterA=1 */
/* dataAtIterB=17 numReadsIterB=19 skipReadsIterB=1 readsPerIterB=1 */


/* iter 19 */

s_waitcnt vmcnt(46)                                // lgkmcnt=-1 vmcnt=46global read wait for DirectToVgpr

/*  grEndMfmaIndex:6, lwStartMfmaIndex:22, lwEndMfmaIndex:29  */
/*  numMfmaForLR:0, barrierMfmaIndex:31, LocalWritePerMfma:0.165 */
/*  mfmaIndex:19  */
_ds_load_b32 v[vgprValuA_X0_I0+0], v[vgprLocalReadAddrA] offset:2560 // L -> Reg lro=640 swapByteOffset=0 ti=16 vIdx=0 rIdx=0 oIdx=0 buffer=0 iui=0
/* localReadsVacancy: latencyLeft 3 */
s_waitcnt lgkmcnt(1)                               // lgkmcnt=0 vmcnt=-1wait for prior local read local write old=0, new=1 newLW=0 newLR=1
v_mfma_f32_16x16x1_4b_f32 a[0+0:15+0], v[vgprValuA_X1_I0+0+0+0], v[vgprG2LB+19+0], a[0:15]
/* numPrefetchIter=0 */
/* dataAtIterA=18 numReadsIterA=20 skipReadsIterA=1 readsPerIterA=1 */
/* dataAtIterB=18 numReadsIterB=20 skipReadsIterB=1 readsPerIterB=1 */


/* iter 20 */

s_waitcnt vmcnt(45)                                // lgkmcnt=-1 vmcnt=45global read wait for DirectToVgpr

/*  grEndMfmaIndex:6, lwStartMfmaIndex:22, lwEndMfmaIndex:29  */
/*  numMfmaForLR:0, barrierMfmaIndex:31, LocalWritePerMfma:0.165 */
/*  mfmaIndex:20  */
_ds_load_b32 v[vgprValuA_X1_I0+0], v[vgprLocalReadAddrA] offset:2688 // L -> Reg lro=672 swapByteOffset=0 ti=16 vIdx=0 rIdx=0 oIdx=0 buffer=1 iui=0
/* localReadsVacancy: latencyLeft 3 */
s_waitcnt lgkmcnt(1)                               // lgkmcnt=0 vmcnt=-1wait for prior local read local write old=0, new=1 newLW=0 newLR=1
v_mfma_f32_16x16x1_4b_f32 a[0+0:15+0], v[vgprValuA_X0_I0+0+0+0], v[vgprG2LB+20+0], a[0:15]
/* numPrefetchIter=0 */
/* dataAtIterA=19 numReadsIterA=21 skipReadsIterA=1 readsPerIterA=1 */
/* dataAtIterB=19 numReadsIterB=21 skipReadsIterB=1 readsPerIterB=1 */


/* iter 21 */

s_waitcnt vmcnt(44)                                // lgkmcnt=-1 vmcnt=44global read wait for DirectToVgpr

/*  grEndMfmaIndex:6, lwStartMfmaIndex:22, lwEndMfmaIndex:29  */
/*  numMfmaForLR:0, barrierMfmaIndex:31, LocalWritePerMfma:0.165 */
/*  mfmaIndex:21  */
_ds_load_b32 v[vgprValuA_X0_I0+0], v[vgprLocalReadAddrA] offset:2816 // L -> Reg lro=704 swapByteOffset=0 ti=16 vIdx=0 rIdx=0 oIdx=0 buffer=0 iui=0
/* localReadsVacancy: latencyLeft 3 */
s_waitcnt lgkmcnt(1)                               // lgkmcnt=0 vmcnt=-1wait for prior local read local write old=0, new=1 newLW=0 newLR=1
v_mfma_f32_16x16x1_4b_f32 a[0+0:15+0], v[vgprValuA_X1_I0+0+0+0], v[vgprG2LB+21+0], a[0:15]
/* numPrefetchIter=0 */
/* dataAtIterA=20 numReadsIterA=22 skipReadsIterA=1 readsPerIterA=1 */
/* dataAtIterB=20 numReadsIterB=22 skipReadsIterB=1 readsPerIterB=1 */


/* iter 22 */

s_waitcnt vmcnt(43)                                // lgkmcnt=-1 vmcnt=43global read wait for DirectToVgpr

/*  grEndMfmaIndex:6, lwStartMfmaIndex:22, lwEndMfmaIndex:29  */
/*  numMfmaForLR:0, barrierMfmaIndex:31, LocalWritePerMfma:0.165 */
/*  mfmaIndex:22  */
_ds_load_b32 v[vgprValuA_X1_I0+0], v[vgprLocalReadAddrA] offset:2944 // L -> Reg lro=736 swapByteOffset=0 ti=16 vIdx=0 rIdx=0 oIdx=0 buffer=1 iui=0
/* sched write - iter 22 writesPerItem=1 */
s_waitcnt vmcnt(0)                                 // lgkmcnt=-1 vmcnt=0wait for global read before writing to local
_ds_store_b32 v[vgprLocalWriteAddrA], v[vgprG2LA+0] offset:0 // lwoA_0_0_0_0 = (0*LSCA) + (0*LSPA)(*MT0I+PAD) = 0
s_waitcnt lgkmcnt(2)                               // lgkmcnt=0 vmcnt=-1wait for prior local read local write old=0, new=2 newLW=1 newLR=1
v_mfma_f32_16x16x1_4b_f32 a[0+0:15+0], v[vgprValuA_X0_I0+0+0+0], v[vgprG2LB+22+0], a[0:15]
/* numPrefetchIter=0 */
/* dataAtIterA=21 numReadsIterA=23 skipReadsIterA=1 readsPerIterA=1 */
/* dataAtIterB=21 numReadsIterB=23 skipReadsIterB=1 readsPerIterB=1 */


/* iter 23 */

/*  grEndMfmaIndex:6, lwStartMfmaIndex:22, lwEndMfmaIndex:29  */
/*  numMfmaForLR:0, barrierMfmaIndex:31, LocalWritePerMfma:0.165 */
/*  mfmaIndex:23  */
_ds_load_b32 v[vgprValuA_X0_I0+0], v[vgprLocalReadAddrA] offset:3072 // L -> Reg lro=768 swapByteOffset=0 ti=16 vIdx=0 rIdx=0 oIdx=0 buffer=0 iui=0
/* localReadsVacancy: latencyLeft 3 */
s_waitcnt lgkmcnt(2)                               // lgkmcnt=0 vmcnt=-1wait for prior local read local write old=0, new=2 newLW=1 newLR=1
v_mfma_f32_16x16x1_4b_f32 a[0+0:15+0], v[vgprValuA_X1_I0+0+0+0], v[vgprG2LB+23+0], a[0:15]
/* numPrefetchIter=0 */
/* dataAtIterA=22 numReadsIterA=24 skipReadsIterA=1 readsPerIterA=1 */
/* dataAtIterB=22 numReadsIterB=24 skipReadsIterB=1 readsPerIterB=1 */


/* iter 24 */

s_waitcnt vmcnt(41)                                // lgkmcnt=-1 vmcnt=41global read wait for DirectToVgpr

/*  grEndMfmaIndex:6, lwStartMfmaIndex:22, lwEndMfmaIndex:29  */
/*  numMfmaForLR:0, barrierMfmaIndex:31, LocalWritePerMfma:0.165 */
/*  mfmaIndex:24  */
_ds_load_b32 v[vgprValuA_X1_I0+0], v[vgprLocalReadAddrA] offset:3200 // L -> Reg lro=800 swapByteOffset=0 ti=16 vIdx=0 rIdx=0 oIdx=0 buffer=1 iui=0
/* localReadsVacancy: latencyLeft 3 */
s_waitcnt lgkmcnt(1)                               // lgkmcnt=0 vmcnt=-1wait for prior local read local write old=0, new=1 newLW=0 newLR=1
v_mfma_f32_16x16x1_4b_f32 a[0+0:15+0], v[vgprValuA_X0_I0+0+0+0], v[vgprG2LB+24+0], a[0:15]
/* numPrefetchIter=0 */
/* dataAtIterA=23 numReadsIterA=25 skipReadsIterA=1 readsPerIterA=1 */
/* dataAtIterB=23 numReadsIterB=25 skipReadsIterB=1 readsPerIterB=1 */


/* iter 25 */

s_waitcnt vmcnt(40)                                // lgkmcnt=-1 vmcnt=40global read wait for DirectToVgpr

/*  grEndMfmaIndex:6, lwStartMfmaIndex:22, lwEndMfmaIndex:29  */
/*  numMfmaForLR:0, barrierMfmaIndex:31, LocalWritePerMfma:0.165 */
/*  mfmaIndex:25  */
_ds_load_b32 v[vgprValuA_X0_I0+0], v[vgprLocalReadAddrA] offset:3328 // L -> Reg lro=832 swapByteOffset=0 ti=16 vIdx=0 rIdx=0 oIdx=0 buffer=0 iui=0
/* localReadsVacancy: latencyLeft 3 */
s_waitcnt lgkmcnt(1)                               // lgkmcnt=0 vmcnt=-1wait for prior local read local write old=0, new=1 newLW=0 newLR=1
v_mfma_f32_16x16x1_4b_f32 a[0+0:15+0], v[vgprValuA_X1_I0+0+0+0], v[vgprG2LB+25+0], a[0:15]
/* numPrefetchIter=0 */
/* dataAtIterA=24 numReadsIterA=26 skipReadsIterA=1 readsPerIterA=1 */
/* dataAtIterB=24 numReadsIterB=26 skipReadsIterB=1 readsPerIterB=1 */


/* iter 26 */

s_waitcnt vmcnt(39)                                // lgkmcnt=-1 vmcnt=39global read wait for DirectToVgpr

/*  grEndMfmaIndex:6, lwStartMfmaIndex:22, lwEndMfmaIndex:29  */
/*  numMfmaForLR:0, barrierMfmaIndex:31, LocalWritePerMfma:0.165 */
/*  mfmaIndex:26  */
_ds_load_b32 v[vgprValuA_X1_I0+0], v[vgprLocalReadAddrA] offset:3456 // L -> Reg lro=864 swapByteOffset=0 ti=16 vIdx=0 rIdx=0 oIdx=0 buffer=1 iui=0
/* localReadsVacancy: latencyLeft 3 */
s_waitcnt lgkmcnt(1)                               // lgkmcnt=0 vmcnt=-1wait for prior local read local write old=0, new=1 newLW=0 newLR=1
v_mfma_f32_16x16x1_4b_f32 a[0+0:15+0], v[vgprValuA_X0_I0+0+0+0], v[vgprG2LB+26+0], a[0:15]
/* numPrefetchIter=0 */
/* dataAtIterA=25 numReadsIterA=27 skipReadsIterA=1 readsPerIterA=1 */
/* dataAtIterB=25 numReadsIterB=27 skipReadsIterB=1 readsPerIterB=1 */


/* iter 27 */

s_waitcnt vmcnt(38)                                // lgkmcnt=-1 vmcnt=38global read wait for DirectToVgpr

/*  grEndMfmaIndex:6, lwStartMfmaIndex:22, lwEndMfmaIndex:29  */
/*  numMfmaForLR:0, barrierMfmaIndex:31, LocalWritePerMfma:0.165 */
/*  mfmaIndex:27  */
_ds_load_b32 v[vgprValuA_X0_I0+0], v[vgprLocalReadAddrA] offset:3584 // L -> Reg lro=896 swapByteOffset=0 ti=16 vIdx=0 rIdx=0 oIdx=0 buffer=0 iui=0
/* localReadsVacancy: latencyLeft 3 */
s_waitcnt lgkmcnt(1)                               // lgkmcnt=0 vmcnt=-1wait for prior local read local write old=0, new=1 newLW=0 newLR=1
v_mfma_f32_16x16x1_4b_f32 a[0+0:15+0], v[vgprValuA_X1_I0+0+0+0], v[vgprG2LB+27+0], a[0:15]
/* numPrefetchIter=0 */
/* dataAtIterA=26 numReadsIterA=28 skipReadsIterA=1 readsPerIterA=1 */
/* dataAtIterB=26 numReadsIterB=28 skipReadsIterB=1 readsPerIterB=1 */


/* iter 28 */

s_waitcnt vmcnt(37)                                // lgkmcnt=-1 vmcnt=37global read wait for DirectToVgpr

/*  grEndMfmaIndex:6, lwStartMfmaIndex:22, lwEndMfmaIndex:29  */
/*  numMfmaForLR:0, barrierMfmaIndex:31, LocalWritePerMfma:0.165 */
/*  mfmaIndex:28  */
_ds_load_b32 v[vgprValuA_X1_I0+0], v[vgprLocalReadAddrA] offset:3712 // L -> Reg lro=928 swapByteOffset=0 ti=16 vIdx=0 rIdx=0 oIdx=0 buffer=1 iui=0
/* sched write - iter 28 writesPerItem=1 */
s_waitcnt vmcnt(0)                                 // lgkmcnt=-1 vmcnt=0wait for global read before writing to local
_ds_store_b32 v[vgprLocalWriteAddrA], v[vgprG2LA+1] offset:2048 // lwoA_0_0_1_0 = (0*LSCA) + (1*LSPA)(*MT0I+PAD) = 2048
s_waitcnt lgkmcnt(2)                               // lgkmcnt=0 vmcnt=-1wait for prior local read local write old=0, new=2 newLW=1 newLR=1
v_mfma_f32_16x16x1_4b_f32 a[0+0:15+0], v[vgprValuA_X0_I0+0+0+0], v[vgprG2LB+28+0], a[0:15]
/* numPrefetchIter=0 */
/* dataAtIterA=27 numReadsIterA=29 skipReadsIterA=1 readsPerIterA=1 */
/* dataAtIterB=27 numReadsIterB=29 skipReadsIterB=1 readsPerIterB=1 */


/* iter 29 (swap and reset local write pointers iteration)  */

/*  grEndMfmaIndex:6, lwStartMfmaIndex:22, lwEndMfmaIndex:29  */
/*  numMfmaForLR:0, barrierMfmaIndex:31, LocalWritePerMfma:0.165 */
/*  mfmaIndex:29  */
_ds_load_b32 v[vgprValuA_X0_I0+0], v[vgprLocalReadAddrA] offset:3840 // L -> Reg lro=960 swapByteOffset=0 ti=16 vIdx=0 rIdx=0 oIdx=0 buffer=0 iui=0
/* localReadsVacancy: latencyLeft 3 */

/* local write swap offsets a */

/* (EPS=1) local write swap internal offset -> 4096 */

/* local write swap offsets b */

/* (EPS=1) local write swap internal offset -> 4096 */
s_waitcnt lgkmcnt(2)                               // lgkmcnt=0 vmcnt=-1wait for prior local read local write old=0, new=2 newLW=1 newLR=1
v_mfma_f32_16x16x1_4b_f32 a[0+0:15+0], v[vgprValuA_X1_I0+0+0+0], v[vgprG2LB+29+0], a[0:15]
/* numPrefetchIter=0 */
/* dataAtIterA=28 numReadsIterA=30 skipReadsIterA=1 readsPerIterA=1 */
/* dataAtIterB=28 numReadsIterB=30 skipReadsIterB=1 readsPerIterB=1 */


/* iter 30 (reset local read pointers iteration)  (swap local read pointers iteration)  */

s_waitcnt vmcnt(35)                                // lgkmcnt=-1 vmcnt=35global read wait for DirectToVgpr

/*  grEndMfmaIndex:6, lwStartMfmaIndex:22, lwEndMfmaIndex:29  */
/*  numMfmaForLR:0, barrierMfmaIndex:31, LocalWritePerMfma:0.165 */
/*  mfmaIndex:30  */
_ds_load_b32 v[vgprValuA_X1_I0+0], v[vgprLocalReadAddrA] offset:3968 // L -> Reg lro=992 swapByteOffset=0 ti=16 vIdx=0 rIdx=0 oIdx=0 buffer=1 iui=0
/* localReadsVacancy: latencyLeft 3 */

/* local read swap offsets a */
v_xor_b32 v[vgprLocalReadAddrA], 0x1000, v[vgprLocalReadAddrA] // swap Red Blk

/* local read swap offsets b */

/* local read init pointers a */

/* localReadInitPointers */

/* local read init pointers b */
s_waitcnt lgkmcnt(1)                               // lgkmcnt=0 vmcnt=-1wait for prior local read local write old=0, new=1 newLW=0 newLR=1
v_mfma_f32_16x16x1_4b_f32 a[0+0:15+0], v[vgprValuA_X0_I0+0+0+0], v[vgprG2LB+30+0], a[0:15]
/* numPrefetchIter=0 */
/* dataAtIterA=29 numReadsIterA=31 skipReadsIterA=1 readsPerIterA=1 */
/* dataAtIterB=29 numReadsIterB=31 skipReadsIterB=1 readsPerIterB=1 */


/* iter 31 */

s_waitcnt vmcnt(34)                                // lgkmcnt=-1 vmcnt=34global read wait for DirectToVgpr

/*  grEndMfmaIndex:6, lwStartMfmaIndex:22, lwEndMfmaIndex:29  */
/*  numMfmaForLR:0, barrierMfmaIndex:31, LocalWritePerMfma:0.165 */
/*  mfmaIndex:31  */
s_waitcnt lgkmcnt(0)                               // lgkmcnt=0 vmcnt=-13wait for local write
// Skip force waitcnt0
s_barrier //
_ds_load_b32 v[vgprValuA_X0_I0+0], v[vgprLocalReadAddrA] offset:0 // L -> Reg lro=0 swapByteOffset=0 ti=16 vIdx=0 rIdx=0 oIdx=0 buffer=0 iui=0
s_waitcnt lgkmcnt(1)                               // lgkmcnt=0 vmcnt=-1wait for prior local read local write old=0, new=1 newLW=0 newLR=1
v_mfma_f32_16x16x1_4b_f32 a[0+0:15+0], v[vgprValuA_X1_I0+0+0+0], v[vgprG2LB+31+0], a[0:15]
/* numPrefetchIter=1 */
/* dataAtIterA=30 numReadsIterA=31 skipReadsIterA=1 readsPerIterA=1 */
/* dataAtIterB=30 numReadsIterB=31 skipReadsIterB=1 readsPerIterB=1 */

label_0018: // EvenEndNoGlobalLoadLoopOrd 

label_0014:


/******************************************/
/* Opt. NoLoadLoop Without PAP - Begin                                      */
/******************************************/

s_cmpk_eq_u32 s[sgprBeta], 0x0                     // Beta == 0
s_cbranch_scc0 OptNLL_End_19                       // Branch if Beta is not zero

s_cmp_eq_u32 s[sgprAlpha], 1.0                     // Alpha == 1.0 ?
s_cbranch_scc0 OptNLL_End_19                       // branch if alpha != 1

s_and_b32 s56, 15, s[sgprSizeI]                    // s56 = s[sgprSizeI] % 16
s_add_u32 s57, -0x1, s[sgprNumWorkGroups0]         // 
s_cmp_ge_u32 s[sgprWorkGroup0], s57                // wg0 >= nwg0-1 ?
s_cselect_b32 s56, s56, 0                          // set rMT0
s_cmpk_gt_u32 s56, 0x0                             // rMT0 > 0
s_cbranch_scc1 OptNLL_End_19                       // jump if edges required
s_and_b32 s56, 255, s[sgprSizeJ]                   // s56 = s[sgprSizeJ] % 256
s_add_u32 s57, -0x1, s[sgprNumWorkGroups1]         // 
s_cmp_ge_u32 s[sgprWorkGroup1], s57                // wg1 >= nwg1-1
s_cselect_b32 s56, s56, 0                          // set rMT1
s_cmpk_gt_u32 s56, 0x0                             // rMT1 > 0
s_cbranch_scc1 OptNLL_End_19                       // jump if edges required

s_and_b32 s57, 31, s[sgprSizesSum+0]               // s57 = s[sgprSizesSum+0] % 32
s_cmp_eq_u32 s57, 0x0                              // numIterL == 0
s_cbranch_scc0 OptNLL_End_19                       // skip if tail loop required

s_and_b32 s56, s[sgprOrigLoopCounter], 1           // test if OrigLoopCounter is Odd ?
s_cbranch_scc0 label_0020                          // Skip odd code if OrigLoopCounter is Even


	;; [unrolled: 1-line block ×3, first 2 shown]
/* iter 0 (last unrolled loop) */

s_waitcnt vmcnt(31)                                // lgkmcnt=-1 vmcnt=31global read wait for DirectToVgpr

/*  grEndMfmaIndex:0, lwStartMfmaIndex:29, lwEndMfmaIndex:29  */
/*  numMfmaForLR:0, barrierMfmaIndex:31, LocalWritePerMfma:0.165 */
/*  mfmaIndex:0  */
_ds_load_b32 v[vgprValuA_X1_I0+0], v[vgprLocalReadAddrA] offset:128 // L -> Reg lro=32 swapByteOffset=0 ti=16 vIdx=0 rIdx=0 oIdx=0 buffer=1 iui=0
/* localReadsVacancy: latencyLeft 3 */
s_waitcnt lgkmcnt(1)                               // lgkmcnt=0 vmcnt=-1wait for prior local read local write old=0, new=1 newLW=0 newLR=1
v_mfma_f32_16x16x1_4b_f32 a[0+0:15+0], v[vgprValuA_X0_I0+0+0+0], v[vgprG2LB+0+0], a[0:15]
/* numPrefetchIter=0 */
/* dataAtIterA=-1 numReadsIterA=1 skipReadsIterA=1 readsPerIterA=1 */
/* dataAtIterB=-1 numReadsIterB=1 skipReadsIterB=1 readsPerIterB=1 */


/* iter 1 (last unrolled loop) */

s_waitcnt vmcnt(30)                                // lgkmcnt=-1 vmcnt=30global read wait for DirectToVgpr

/*  grEndMfmaIndex:0, lwStartMfmaIndex:29, lwEndMfmaIndex:29  */
/*  numMfmaForLR:0, barrierMfmaIndex:31, LocalWritePerMfma:0.165 */
/*  mfmaIndex:1  */
_ds_load_b32 v[vgprValuA_X0_I0+0], v[vgprLocalReadAddrA] offset:256 // L -> Reg lro=64 swapByteOffset=0 ti=16 vIdx=0 rIdx=0 oIdx=0 buffer=0 iui=0
/* localReadsVacancy: latencyLeft 3 */
s_waitcnt lgkmcnt(1)                               // lgkmcnt=0 vmcnt=-1wait for prior local read local write old=0, new=1 newLW=0 newLR=1
v_mfma_f32_16x16x1_4b_f32 a[0+0:15+0], v[vgprValuA_X1_I0+0+0+0], v[vgprG2LB+1+0], a[0:15]
/* numPrefetchIter=0 */
/* dataAtIterA=0 numReadsIterA=2 skipReadsIterA=1 readsPerIterA=1 */
/* dataAtIterB=0 numReadsIterB=2 skipReadsIterB=1 readsPerIterB=1 */


/* iter 2 (last unrolled loop) */

s_waitcnt vmcnt(29)                                // lgkmcnt=-1 vmcnt=29global read wait for DirectToVgpr

/*  grEndMfmaIndex:0, lwStartMfmaIndex:29, lwEndMfmaIndex:29  */
/*  numMfmaForLR:0, barrierMfmaIndex:31, LocalWritePerMfma:0.165 */
/*  mfmaIndex:2  */
_ds_load_b32 v[vgprValuA_X1_I0+0], v[vgprLocalReadAddrA] offset:384 // L -> Reg lro=96 swapByteOffset=0 ti=16 vIdx=0 rIdx=0 oIdx=0 buffer=1 iui=0
/* localReadsVacancy: latencyLeft 3 */
s_waitcnt lgkmcnt(1)                               // lgkmcnt=0 vmcnt=-1wait for prior local read local write old=0, new=1 newLW=0 newLR=1
v_mfma_f32_16x16x1_4b_f32 a[0+0:15+0], v[vgprValuA_X0_I0+0+0+0], v[vgprG2LB+2+0], a[0:15]
/* numPrefetchIter=0 */
/* dataAtIterA=1 numReadsIterA=3 skipReadsIterA=1 readsPerIterA=1 */
/* dataAtIterB=1 numReadsIterB=3 skipReadsIterB=1 readsPerIterB=1 */


/* iter 3 (last unrolled loop) */

s_waitcnt vmcnt(28)                                // lgkmcnt=-1 vmcnt=28global read wait for DirectToVgpr

/*  grEndMfmaIndex:0, lwStartMfmaIndex:29, lwEndMfmaIndex:29  */
/*  numMfmaForLR:0, barrierMfmaIndex:31, LocalWritePerMfma:0.165 */
/*  mfmaIndex:3  */
_ds_load_b32 v[vgprValuA_X0_I0+0], v[vgprLocalReadAddrA] offset:512 // L -> Reg lro=128 swapByteOffset=0 ti=16 vIdx=0 rIdx=0 oIdx=0 buffer=0 iui=0
/* localReadsVacancy: latencyLeft 3 */
s_waitcnt lgkmcnt(1)                               // lgkmcnt=0 vmcnt=-1wait for prior local read local write old=0, new=1 newLW=0 newLR=1
v_mfma_f32_16x16x1_4b_f32 a[0+0:15+0], v[vgprValuA_X1_I0+0+0+0], v[vgprG2LB+3+0], a[0:15]
/* numPrefetchIter=0 */
/* dataAtIterA=2 numReadsIterA=4 skipReadsIterA=1 readsPerIterA=1 */
/* dataAtIterB=2 numReadsIterB=4 skipReadsIterB=1 readsPerIterB=1 */


/* iter 4 (last unrolled loop) */

s_waitcnt vmcnt(27)                                // lgkmcnt=-1 vmcnt=27global read wait for DirectToVgpr

/*  grEndMfmaIndex:0, lwStartMfmaIndex:29, lwEndMfmaIndex:29  */
/*  numMfmaForLR:0, barrierMfmaIndex:31, LocalWritePerMfma:0.165 */
/*  mfmaIndex:4  */
_ds_load_b32 v[vgprValuA_X1_I0+0], v[vgprLocalReadAddrA] offset:640 // L -> Reg lro=160 swapByteOffset=0 ti=16 vIdx=0 rIdx=0 oIdx=0 buffer=1 iui=0
/* localReadsVacancy: latencyLeft 3 */
s_waitcnt lgkmcnt(1)                               // lgkmcnt=0 vmcnt=-1wait for prior local read local write old=0, new=1 newLW=0 newLR=1
v_mfma_f32_16x16x1_4b_f32 a[0+0:15+0], v[vgprValuA_X0_I0+0+0+0], v[vgprG2LB+4+0], a[0:15]
/* numPrefetchIter=0 */
/* dataAtIterA=3 numReadsIterA=5 skipReadsIterA=1 readsPerIterA=1 */
/* dataAtIterB=3 numReadsIterB=5 skipReadsIterB=1 readsPerIterB=1 */


/* iter 5 (last unrolled loop) */

s_waitcnt vmcnt(26)                                // lgkmcnt=-1 vmcnt=26global read wait for DirectToVgpr

/*  grEndMfmaIndex:0, lwStartMfmaIndex:29, lwEndMfmaIndex:29  */
/*  numMfmaForLR:0, barrierMfmaIndex:31, LocalWritePerMfma:0.165 */
/*  mfmaIndex:5  */
_ds_load_b32 v[vgprValuA_X0_I0+0], v[vgprLocalReadAddrA] offset:768 // L -> Reg lro=192 swapByteOffset=0 ti=16 vIdx=0 rIdx=0 oIdx=0 buffer=0 iui=0
/* localReadsVacancy: latencyLeft 3 */
s_waitcnt lgkmcnt(1)                               // lgkmcnt=0 vmcnt=-1wait for prior local read local write old=0, new=1 newLW=0 newLR=1
v_mfma_f32_16x16x1_4b_f32 a[0+0:15+0], v[vgprValuA_X1_I0+0+0+0], v[vgprG2LB+5+0], a[0:15]
/* numPrefetchIter=0 */
/* dataAtIterA=4 numReadsIterA=6 skipReadsIterA=1 readsPerIterA=1 */
/* dataAtIterB=4 numReadsIterB=6 skipReadsIterB=1 readsPerIterB=1 */


/* iter 6 (last unrolled loop) */

s_waitcnt vmcnt(25)                                // lgkmcnt=-1 vmcnt=25global read wait for DirectToVgpr

/*  grEndMfmaIndex:0, lwStartMfmaIndex:29, lwEndMfmaIndex:29  */
/*  numMfmaForLR:0, barrierMfmaIndex:31, LocalWritePerMfma:0.165 */
/*  mfmaIndex:6  */
_ds_load_b32 v[vgprValuA_X1_I0+0], v[vgprLocalReadAddrA] offset:896 // L -> Reg lro=224 swapByteOffset=0 ti=16 vIdx=0 rIdx=0 oIdx=0 buffer=1 iui=0
/* localReadsVacancy: latencyLeft 3 */
s_waitcnt lgkmcnt(1)                               // lgkmcnt=0 vmcnt=-1wait for prior local read local write old=0, new=1 newLW=0 newLR=1
v_mfma_f32_16x16x1_4b_f32 a[0+0:15+0], v[vgprValuA_X0_I0+0+0+0], v[vgprG2LB+6+0], a[0:15]
/* numPrefetchIter=0 */
/* dataAtIterA=5 numReadsIterA=7 skipReadsIterA=1 readsPerIterA=1 */
/* dataAtIterB=5 numReadsIterB=7 skipReadsIterB=1 readsPerIterB=1 */


/* iter 7 (last unrolled loop) */

s_waitcnt vmcnt(24)                                // lgkmcnt=-1 vmcnt=24global read wait for DirectToVgpr

/*  grEndMfmaIndex:0, lwStartMfmaIndex:29, lwEndMfmaIndex:29  */
/*  numMfmaForLR:0, barrierMfmaIndex:31, LocalWritePerMfma:0.165 */
/*  mfmaIndex:7  */
_ds_load_b32 v[vgprValuA_X0_I0+0], v[vgprLocalReadAddrA] offset:1024 // L -> Reg lro=256 swapByteOffset=0 ti=16 vIdx=0 rIdx=0 oIdx=0 buffer=0 iui=0
/* localReadsVacancy: latencyLeft 3 */
s_waitcnt lgkmcnt(1)                               // lgkmcnt=0 vmcnt=-1wait for prior local read local write old=0, new=1 newLW=0 newLR=1
v_mfma_f32_16x16x1_4b_f32 a[0+0:15+0], v[vgprValuA_X1_I0+0+0+0], v[vgprG2LB+7+0], a[0:15]
/* numPrefetchIter=0 */
/* dataAtIterA=6 numReadsIterA=8 skipReadsIterA=1 readsPerIterA=1 */
/* dataAtIterB=6 numReadsIterB=8 skipReadsIterB=1 readsPerIterB=1 */


/* iter 8 (last unrolled loop) */

s_waitcnt vmcnt(23)                                // lgkmcnt=-1 vmcnt=23global read wait for DirectToVgpr

/*  grEndMfmaIndex:0, lwStartMfmaIndex:29, lwEndMfmaIndex:29  */
/*  numMfmaForLR:0, barrierMfmaIndex:31, LocalWritePerMfma:0.165 */
/*  mfmaIndex:8  */
_ds_load_b32 v[vgprValuA_X1_I0+0], v[vgprLocalReadAddrA] offset:1152 // L -> Reg lro=288 swapByteOffset=0 ti=16 vIdx=0 rIdx=0 oIdx=0 buffer=1 iui=0
/* localReadsVacancy: latencyLeft 3 */
s_waitcnt lgkmcnt(1)                               // lgkmcnt=0 vmcnt=-1wait for prior local read local write old=0, new=1 newLW=0 newLR=1
v_mfma_f32_16x16x1_4b_f32 a[0+0:15+0], v[vgprValuA_X0_I0+0+0+0], v[vgprG2LB+8+0], a[0:15]
/* numPrefetchIter=0 */
/* dataAtIterA=7 numReadsIterA=9 skipReadsIterA=1 readsPerIterA=1 */
/* dataAtIterB=7 numReadsIterB=9 skipReadsIterB=1 readsPerIterB=1 */


/* iter 9 (last unrolled loop) */

s_waitcnt vmcnt(22)                                // lgkmcnt=-1 vmcnt=22global read wait for DirectToVgpr

/*  grEndMfmaIndex:0, lwStartMfmaIndex:29, lwEndMfmaIndex:29  */
/*  numMfmaForLR:0, barrierMfmaIndex:31, LocalWritePerMfma:0.165 */
/*  mfmaIndex:9  */
_ds_load_b32 v[vgprValuA_X0_I0+0], v[vgprLocalReadAddrA] offset:1280 // L -> Reg lro=320 swapByteOffset=0 ti=16 vIdx=0 rIdx=0 oIdx=0 buffer=0 iui=0
/* localReadsVacancy: latencyLeft 3 */
s_waitcnt lgkmcnt(1)                               // lgkmcnt=0 vmcnt=-1wait for prior local read local write old=0, new=1 newLW=0 newLR=1
v_mfma_f32_16x16x1_4b_f32 a[0+0:15+0], v[vgprValuA_X1_I0+0+0+0], v[vgprG2LB+9+0], a[0:15]
/* numPrefetchIter=0 */
/* dataAtIterA=8 numReadsIterA=10 skipReadsIterA=1 readsPerIterA=1 */
/* dataAtIterB=8 numReadsIterB=10 skipReadsIterB=1 readsPerIterB=1 */


/* iter 10 (last unrolled loop) */

s_waitcnt vmcnt(21)                                // lgkmcnt=-1 vmcnt=21global read wait for DirectToVgpr

/*  grEndMfmaIndex:0, lwStartMfmaIndex:29, lwEndMfmaIndex:29  */
/*  numMfmaForLR:0, barrierMfmaIndex:31, LocalWritePerMfma:0.165 */
/*  mfmaIndex:10  */
_ds_load_b32 v[vgprValuA_X1_I0+0], v[vgprLocalReadAddrA] offset:1408 // L -> Reg lro=352 swapByteOffset=0 ti=16 vIdx=0 rIdx=0 oIdx=0 buffer=1 iui=0
/* localReadsVacancy: latencyLeft 3 */
s_waitcnt lgkmcnt(1)                               // lgkmcnt=0 vmcnt=-1wait for prior local read local write old=0, new=1 newLW=0 newLR=1
v_mfma_f32_16x16x1_4b_f32 a[0+0:15+0], v[vgprValuA_X0_I0+0+0+0], v[vgprG2LB+10+0], a[0:15]
/* numPrefetchIter=0 */
/* dataAtIterA=9 numReadsIterA=11 skipReadsIterA=1 readsPerIterA=1 */
/* dataAtIterB=9 numReadsIterB=11 skipReadsIterB=1 readsPerIterB=1 */


/* iter 11 (last unrolled loop) */

s_waitcnt vmcnt(20)                                // lgkmcnt=-1 vmcnt=20global read wait for DirectToVgpr

/*  grEndMfmaIndex:0, lwStartMfmaIndex:29, lwEndMfmaIndex:29  */
/*  numMfmaForLR:0, barrierMfmaIndex:31, LocalWritePerMfma:0.165 */
/*  mfmaIndex:11  */
_ds_load_b32 v[vgprValuA_X0_I0+0], v[vgprLocalReadAddrA] offset:1536 // L -> Reg lro=384 swapByteOffset=0 ti=16 vIdx=0 rIdx=0 oIdx=0 buffer=0 iui=0
/* localReadsVacancy: latencyLeft 3 */
s_waitcnt lgkmcnt(1)                               // lgkmcnt=0 vmcnt=-1wait for prior local read local write old=0, new=1 newLW=0 newLR=1
v_mfma_f32_16x16x1_4b_f32 a[0+0:15+0], v[vgprValuA_X1_I0+0+0+0], v[vgprG2LB+11+0], a[0:15]
/* numPrefetchIter=0 */
/* dataAtIterA=10 numReadsIterA=12 skipReadsIterA=1 readsPerIterA=1 */
/* dataAtIterB=10 numReadsIterB=12 skipReadsIterB=1 readsPerIterB=1 */


/* iter 12 (last unrolled loop) */

s_waitcnt vmcnt(19)                                // lgkmcnt=-1 vmcnt=19global read wait for DirectToVgpr

/*  grEndMfmaIndex:0, lwStartMfmaIndex:29, lwEndMfmaIndex:29  */
/*  numMfmaForLR:0, barrierMfmaIndex:31, LocalWritePerMfma:0.165 */
/*  mfmaIndex:12  */
_ds_load_b32 v[vgprValuA_X1_I0+0], v[vgprLocalReadAddrA] offset:1664 // L -> Reg lro=416 swapByteOffset=0 ti=16 vIdx=0 rIdx=0 oIdx=0 buffer=1 iui=0
/* localReadsVacancy: latencyLeft 3 */
s_waitcnt lgkmcnt(1)                               // lgkmcnt=0 vmcnt=-1wait for prior local read local write old=0, new=1 newLW=0 newLR=1
v_mfma_f32_16x16x1_4b_f32 a[0+0:15+0], v[vgprValuA_X0_I0+0+0+0], v[vgprG2LB+12+0], a[0:15]
/* numPrefetchIter=0 */
/* dataAtIterA=11 numReadsIterA=13 skipReadsIterA=1 readsPerIterA=1 */
/* dataAtIterB=11 numReadsIterB=13 skipReadsIterB=1 readsPerIterB=1 */


/* iter 13 (last unrolled loop) */

s_waitcnt vmcnt(18)                                // lgkmcnt=-1 vmcnt=18global read wait for DirectToVgpr

/*  grEndMfmaIndex:0, lwStartMfmaIndex:29, lwEndMfmaIndex:29  */
/*  numMfmaForLR:0, barrierMfmaIndex:31, LocalWritePerMfma:0.165 */
/*  mfmaIndex:13  */
_ds_load_b32 v[vgprValuA_X0_I0+0], v[vgprLocalReadAddrA] offset:1792 // L -> Reg lro=448 swapByteOffset=0 ti=16 vIdx=0 rIdx=0 oIdx=0 buffer=0 iui=0
/* localReadsVacancy: latencyLeft 3 */
s_waitcnt lgkmcnt(1)                               // lgkmcnt=0 vmcnt=-1wait for prior local read local write old=0, new=1 newLW=0 newLR=1
v_mfma_f32_16x16x1_4b_f32 a[0+0:15+0], v[vgprValuA_X1_I0+0+0+0], v[vgprG2LB+13+0], a[0:15]
/* numPrefetchIter=0 */
/* dataAtIterA=12 numReadsIterA=14 skipReadsIterA=1 readsPerIterA=1 */
/* dataAtIterB=12 numReadsIterB=14 skipReadsIterB=1 readsPerIterB=1 */


/* iter 14 (last unrolled loop) */

s_waitcnt vmcnt(17)                                // lgkmcnt=-1 vmcnt=17global read wait for DirectToVgpr

/*  grEndMfmaIndex:0, lwStartMfmaIndex:29, lwEndMfmaIndex:29  */
/*  numMfmaForLR:0, barrierMfmaIndex:31, LocalWritePerMfma:0.165 */
/*  mfmaIndex:14  */
_ds_load_b32 v[vgprValuA_X1_I0+0], v[vgprLocalReadAddrA] offset:1920 // L -> Reg lro=480 swapByteOffset=0 ti=16 vIdx=0 rIdx=0 oIdx=0 buffer=1 iui=0
/* localReadsVacancy: latencyLeft 3 */
s_waitcnt lgkmcnt(1)                               // lgkmcnt=0 vmcnt=-1wait for prior local read local write old=0, new=1 newLW=0 newLR=1
v_mfma_f32_16x16x1_4b_f32 a[0+0:15+0], v[vgprValuA_X0_I0+0+0+0], v[vgprG2LB+14+0], a[0:15]
/* numPrefetchIter=0 */
/* dataAtIterA=13 numReadsIterA=15 skipReadsIterA=1 readsPerIterA=1 */
/* dataAtIterB=13 numReadsIterB=15 skipReadsIterB=1 readsPerIterB=1 */


/* iter 15 (last unrolled loop) */

s_waitcnt vmcnt(16)                                // lgkmcnt=-1 vmcnt=16global read wait for DirectToVgpr

/*  grEndMfmaIndex:0, lwStartMfmaIndex:29, lwEndMfmaIndex:29  */
/*  numMfmaForLR:0, barrierMfmaIndex:31, LocalWritePerMfma:0.165 */
/*  mfmaIndex:15  */
_ds_load_b32 v[vgprValuA_X0_I0+0], v[vgprLocalReadAddrA] offset:2048 // L -> Reg lro=512 swapByteOffset=0 ti=16 vIdx=0 rIdx=0 oIdx=0 buffer=0 iui=0
/* localReadsVacancy: latencyLeft 3 */
s_waitcnt lgkmcnt(1)                               // lgkmcnt=0 vmcnt=-1wait for prior local read local write old=0, new=1 newLW=0 newLR=1
v_mfma_f32_16x16x1_4b_f32 a[0+0:15+0], v[vgprValuA_X1_I0+0+0+0], v[vgprG2LB+15+0], a[0:15]
/* numPrefetchIter=0 */
/* dataAtIterA=14 numReadsIterA=16 skipReadsIterA=1 readsPerIterA=1 */
/* dataAtIterB=14 numReadsIterB=16 skipReadsIterB=1 readsPerIterB=1 */


/* iter 16 (last unrolled loop) */

s_waitcnt vmcnt(15)                                // lgkmcnt=-1 vmcnt=15global read wait for DirectToVgpr

/*  grEndMfmaIndex:0, lwStartMfmaIndex:29, lwEndMfmaIndex:29  */
/*  numMfmaForLR:0, barrierMfmaIndex:31, LocalWritePerMfma:0.165 */
/*  mfmaIndex:16  */
_ds_load_b32 v[vgprValuA_X1_I0+0], v[vgprLocalReadAddrA] offset:2176 // L -> Reg lro=544 swapByteOffset=0 ti=16 vIdx=0 rIdx=0 oIdx=0 buffer=1 iui=0
/* localReadsVacancy: latencyLeft 3 */
s_waitcnt lgkmcnt(1)                               // lgkmcnt=0 vmcnt=-1wait for prior local read local write old=0, new=1 newLW=0 newLR=1
v_mfma_f32_16x16x1_4b_f32 a[0+0:15+0], v[vgprValuA_X0_I0+0+0+0], v[vgprG2LB+16+0], a[0:15]
/* numPrefetchIter=0 */
/* dataAtIterA=15 numReadsIterA=17 skipReadsIterA=1 readsPerIterA=1 */
/* dataAtIterB=15 numReadsIterB=17 skipReadsIterB=1 readsPerIterB=1 */


/* iter 17 (last unrolled loop) */

s_waitcnt vmcnt(14)                                // lgkmcnt=-1 vmcnt=14global read wait for DirectToVgpr

/*  grEndMfmaIndex:0, lwStartMfmaIndex:29, lwEndMfmaIndex:29  */
/*  numMfmaForLR:0, barrierMfmaIndex:31, LocalWritePerMfma:0.165 */
/*  mfmaIndex:17  */
_ds_load_b32 v[vgprValuA_X0_I0+0], v[vgprLocalReadAddrA] offset:2304 // L -> Reg lro=576 swapByteOffset=0 ti=16 vIdx=0 rIdx=0 oIdx=0 buffer=0 iui=0
/* localReadsVacancy: latencyLeft 3 */
s_waitcnt lgkmcnt(1)                               // lgkmcnt=0 vmcnt=-1wait for prior local read local write old=0, new=1 newLW=0 newLR=1
v_mfma_f32_16x16x1_4b_f32 a[0+0:15+0], v[vgprValuA_X1_I0+0+0+0], v[vgprG2LB+17+0], a[0:15]
/* numPrefetchIter=0 */
/* dataAtIterA=16 numReadsIterA=18 skipReadsIterA=1 readsPerIterA=1 */
/* dataAtIterB=16 numReadsIterB=18 skipReadsIterB=1 readsPerIterB=1 */


/* iter 18 (last unrolled loop) */

s_waitcnt vmcnt(13)                                // lgkmcnt=-1 vmcnt=13global read wait for DirectToVgpr

/*  grEndMfmaIndex:0, lwStartMfmaIndex:29, lwEndMfmaIndex:29  */
/*  numMfmaForLR:0, barrierMfmaIndex:31, LocalWritePerMfma:0.165 */
/*  mfmaIndex:18  */
_ds_load_b32 v[vgprValuA_X1_I0+0], v[vgprLocalReadAddrA] offset:2432 // L -> Reg lro=608 swapByteOffset=0 ti=16 vIdx=0 rIdx=0 oIdx=0 buffer=1 iui=0
/* localReadsVacancy: latencyLeft 3 */
s_waitcnt lgkmcnt(1)                               // lgkmcnt=0 vmcnt=-1wait for prior local read local write old=0, new=1 newLW=0 newLR=1
v_mfma_f32_16x16x1_4b_f32 a[0+0:15+0], v[vgprValuA_X0_I0+0+0+0], v[vgprG2LB+18+0], a[0:15]
/* numPrefetchIter=0 */
/* dataAtIterA=17 numReadsIterA=19 skipReadsIterA=1 readsPerIterA=1 */
/* dataAtIterB=17 numReadsIterB=19 skipReadsIterB=1 readsPerIterB=1 */


/* iter 19 (last unrolled loop) */

s_waitcnt vmcnt(12)                                // lgkmcnt=-1 vmcnt=12global read wait for DirectToVgpr

/*  grEndMfmaIndex:0, lwStartMfmaIndex:29, lwEndMfmaIndex:29  */
/*  numMfmaForLR:0, barrierMfmaIndex:31, LocalWritePerMfma:0.165 */
/*  mfmaIndex:19  */
_ds_load_b32 v[vgprValuA_X0_I0+0], v[vgprLocalReadAddrA] offset:2560 // L -> Reg lro=640 swapByteOffset=0 ti=16 vIdx=0 rIdx=0 oIdx=0 buffer=0 iui=0
/* localReadsVacancy: latencyLeft 3 */
s_waitcnt lgkmcnt(1)                               // lgkmcnt=0 vmcnt=-1wait for prior local read local write old=0, new=1 newLW=0 newLR=1
v_mfma_f32_16x16x1_4b_f32 a[0+0:15+0], v[vgprValuA_X1_I0+0+0+0], v[vgprG2LB+19+0], a[0:15]
/* numPrefetchIter=0 */
/* dataAtIterA=18 numReadsIterA=20 skipReadsIterA=1 readsPerIterA=1 */
/* dataAtIterB=18 numReadsIterB=20 skipReadsIterB=1 readsPerIterB=1 */


/* iter 20 (last unrolled loop) */

s_waitcnt vmcnt(11)                                // lgkmcnt=-1 vmcnt=11global read wait for DirectToVgpr

/*  grEndMfmaIndex:0, lwStartMfmaIndex:29, lwEndMfmaIndex:29  */
/*  numMfmaForLR:0, barrierMfmaIndex:31, LocalWritePerMfma:0.165 */
/*  mfmaIndex:20  */
_ds_load_b32 v[vgprValuA_X1_I0+0], v[vgprLocalReadAddrA] offset:2688 // L -> Reg lro=672 swapByteOffset=0 ti=16 vIdx=0 rIdx=0 oIdx=0 buffer=1 iui=0
/* localReadsVacancy: latencyLeft 3 */
s_waitcnt lgkmcnt(1)                               // lgkmcnt=0 vmcnt=-1wait for prior local read local write old=0, new=1 newLW=0 newLR=1
v_mfma_f32_16x16x1_4b_f32 a[0+0:15+0], v[vgprValuA_X0_I0+0+0+0], v[vgprG2LB+20+0], a[0:15]
/* numPrefetchIter=0 */
/* dataAtIterA=19 numReadsIterA=21 skipReadsIterA=1 readsPerIterA=1 */
/* dataAtIterB=19 numReadsIterB=21 skipReadsIterB=1 readsPerIterB=1 */


/* iter 21 (last unrolled loop) */

s_waitcnt vmcnt(10)                                // lgkmcnt=-1 vmcnt=10global read wait for DirectToVgpr

/*  grEndMfmaIndex:0, lwStartMfmaIndex:29, lwEndMfmaIndex:29  */
/*  numMfmaForLR:0, barrierMfmaIndex:31, LocalWritePerMfma:0.165 */
/*  mfmaIndex:21  */
_ds_load_b32 v[vgprValuA_X0_I0+0], v[vgprLocalReadAddrA] offset:2816 // L -> Reg lro=704 swapByteOffset=0 ti=16 vIdx=0 rIdx=0 oIdx=0 buffer=0 iui=0
/* localReadsVacancy: latencyLeft 3 */
s_waitcnt lgkmcnt(1)                               // lgkmcnt=0 vmcnt=-1wait for prior local read local write old=0, new=1 newLW=0 newLR=1
v_mfma_f32_16x16x1_4b_f32 a[0+0:15+0], v[vgprValuA_X1_I0+0+0+0], v[vgprG2LB+21+0], a[0:15]
/* numPrefetchIter=0 */
/* dataAtIterA=20 numReadsIterA=22 skipReadsIterA=1 readsPerIterA=1 */
/* dataAtIterB=20 numReadsIterB=22 skipReadsIterB=1 readsPerIterB=1 */


/* iter 22 (last unrolled loop) */

s_waitcnt vmcnt(9)                                 // lgkmcnt=-1 vmcnt=9global read wait for DirectToVgpr

/*  grEndMfmaIndex:0, lwStartMfmaIndex:29, lwEndMfmaIndex:29  */
/*  numMfmaForLR:0, barrierMfmaIndex:31, LocalWritePerMfma:0.165 */
/*  mfmaIndex:22  */
_ds_load_b32 v[vgprValuA_X1_I0+0], v[vgprLocalReadAddrA] offset:2944 // L -> Reg lro=736 swapByteOffset=0 ti=16 vIdx=0 rIdx=0 oIdx=0 buffer=1 iui=0
/* localReadsVacancy: latencyLeft 3 */
s_waitcnt lgkmcnt(1)                               // lgkmcnt=0 vmcnt=-1wait for prior local read local write old=0, new=1 newLW=0 newLR=1
v_mfma_f32_16x16x1_4b_f32 a[0+0:15+0], v[vgprValuA_X0_I0+0+0+0], v[vgprG2LB+22+0], a[0:15]
/* numPrefetchIter=0 */
/* dataAtIterA=21 numReadsIterA=23 skipReadsIterA=1 readsPerIterA=1 */
/* dataAtIterB=21 numReadsIterB=23 skipReadsIterB=1 readsPerIterB=1 */


/* iter 23 (last unrolled loop) */

s_waitcnt vmcnt(8)                                 // lgkmcnt=-1 vmcnt=8global read wait for DirectToVgpr

/*  grEndMfmaIndex:0, lwStartMfmaIndex:29, lwEndMfmaIndex:29  */
/*  numMfmaForLR:0, barrierMfmaIndex:31, LocalWritePerMfma:0.165 */
/*  mfmaIndex:23  */
_ds_load_b32 v[vgprValuA_X0_I0+0], v[vgprLocalReadAddrA] offset:3072 // L -> Reg lro=768 swapByteOffset=0 ti=16 vIdx=0 rIdx=0 oIdx=0 buffer=0 iui=0
/* localReadsVacancy: latencyLeft 3 */
s_waitcnt lgkmcnt(1)                               // lgkmcnt=0 vmcnt=-1wait for prior local read local write old=0, new=1 newLW=0 newLR=1
v_mfma_f32_16x16x1_4b_f32 a[0+0:15+0], v[vgprValuA_X1_I0+0+0+0], v[vgprG2LB+23+0], a[0:15]
/* numPrefetchIter=0 */
/* dataAtIterA=22 numReadsIterA=24 skipReadsIterA=1 readsPerIterA=1 */
/* dataAtIterB=22 numReadsIterB=24 skipReadsIterB=1 readsPerIterB=1 */


/* iter 24 (last unrolled loop) */

s_waitcnt vmcnt(7)                                 // lgkmcnt=-1 vmcnt=7global read wait for DirectToVgpr

/*  grEndMfmaIndex:0, lwStartMfmaIndex:29, lwEndMfmaIndex:29  */
/*  numMfmaForLR:0, barrierMfmaIndex:31, LocalWritePerMfma:0.165 */
/*  mfmaIndex:24  */
_ds_load_b32 v[vgprValuA_X1_I0+0], v[vgprLocalReadAddrA] offset:3200 // L -> Reg lro=800 swapByteOffset=0 ti=16 vIdx=0 rIdx=0 oIdx=0 buffer=1 iui=0
/* localReadsVacancy: latencyLeft 3 */
s_waitcnt lgkmcnt(1)                               // lgkmcnt=0 vmcnt=-1wait for prior local read local write old=0, new=1 newLW=0 newLR=1
v_mfma_f32_16x16x1_4b_f32 a[0+0:15+0], v[vgprValuA_X0_I0+0+0+0], v[vgprG2LB+24+0], a[0:15]
/* numPrefetchIter=0 */
/* dataAtIterA=23 numReadsIterA=25 skipReadsIterA=1 readsPerIterA=1 */
/* dataAtIterB=23 numReadsIterB=25 skipReadsIterB=1 readsPerIterB=1 */


/* iter 25 (last unrolled loop) */

s_waitcnt vmcnt(6)                                 // lgkmcnt=-1 vmcnt=6global read wait for DirectToVgpr

/*  grEndMfmaIndex:0, lwStartMfmaIndex:29, lwEndMfmaIndex:29  */
/*  numMfmaForLR:0, barrierMfmaIndex:31, LocalWritePerMfma:0.165 */
/*  mfmaIndex:25  */
_ds_load_b32 v[vgprValuA_X0_I0+0], v[vgprLocalReadAddrA] offset:3328 // L -> Reg lro=832 swapByteOffset=0 ti=16 vIdx=0 rIdx=0 oIdx=0 buffer=0 iui=0
/* localReadsVacancy: latencyLeft 3 */
s_waitcnt lgkmcnt(1)                               // lgkmcnt=0 vmcnt=-1wait for prior local read local write old=0, new=1 newLW=0 newLR=1
v_mfma_f32_16x16x1_4b_f32 a[0+0:15+0], v[vgprValuA_X1_I0+0+0+0], v[vgprG2LB+25+0], a[0:15]
/* numPrefetchIter=0 */
/* dataAtIterA=24 numReadsIterA=26 skipReadsIterA=1 readsPerIterA=1 */
/* dataAtIterB=24 numReadsIterB=26 skipReadsIterB=1 readsPerIterB=1 */


/* iter 26 (last unrolled loop) */

s_waitcnt vmcnt(5)                                 // lgkmcnt=-1 vmcnt=5global read wait for DirectToVgpr

/*  grEndMfmaIndex:0, lwStartMfmaIndex:29, lwEndMfmaIndex:29  */
/*  numMfmaForLR:0, barrierMfmaIndex:31, LocalWritePerMfma:0.165 */
/*  mfmaIndex:26  */
_ds_load_b32 v[vgprValuA_X1_I0+0], v[vgprLocalReadAddrA] offset:3456 // L -> Reg lro=864 swapByteOffset=0 ti=16 vIdx=0 rIdx=0 oIdx=0 buffer=1 iui=0
/* localReadsVacancy: latencyLeft 3 */
s_waitcnt lgkmcnt(1)                               // lgkmcnt=0 vmcnt=-1wait for prior local read local write old=0, new=1 newLW=0 newLR=1
v_mfma_f32_16x16x1_4b_f32 a[0+0:15+0], v[vgprValuA_X0_I0+0+0+0], v[vgprG2LB+26+0], a[0:15]
/* numPrefetchIter=0 */
/* dataAtIterA=25 numReadsIterA=27 skipReadsIterA=1 readsPerIterA=1 */
/* dataAtIterB=25 numReadsIterB=27 skipReadsIterB=1 readsPerIterB=1 */


/* iter 27 (last unrolled loop) */

s_waitcnt vmcnt(4)                                 // lgkmcnt=-1 vmcnt=4global read wait for DirectToVgpr

/*  grEndMfmaIndex:0, lwStartMfmaIndex:29, lwEndMfmaIndex:29  */
/*  numMfmaForLR:0, barrierMfmaIndex:31, LocalWritePerMfma:0.165 */
/*  mfmaIndex:27  */
_ds_load_b32 v[vgprValuA_X0_I0+0], v[vgprLocalReadAddrA] offset:3584 // L -> Reg lro=896 swapByteOffset=0 ti=16 vIdx=0 rIdx=0 oIdx=0 buffer=0 iui=0
/* localReadsVacancy: latencyLeft 3 */
s_waitcnt lgkmcnt(1)                               // lgkmcnt=0 vmcnt=-1wait for prior local read local write old=0, new=1 newLW=0 newLR=1
v_mfma_f32_16x16x1_4b_f32 a[0+0:15+0], v[vgprValuA_X1_I0+0+0+0], v[vgprG2LB+27+0], a[0:15]
/* numPrefetchIter=0 */
/* dataAtIterA=26 numReadsIterA=28 skipReadsIterA=1 readsPerIterA=1 */
/* dataAtIterB=26 numReadsIterB=28 skipReadsIterB=1 readsPerIterB=1 */


/* iter 28 (last unrolled loop) */

s_waitcnt vmcnt(3)                                 // lgkmcnt=-1 vmcnt=3global read wait for DirectToVgpr

/*  grEndMfmaIndex:0, lwStartMfmaIndex:29, lwEndMfmaIndex:29  */
/*  numMfmaForLR:0, barrierMfmaIndex:31, LocalWritePerMfma:0.165 */
/*  mfmaIndex:28  */
_ds_load_b32 v[vgprValuA_X1_I0+0], v[vgprLocalReadAddrA] offset:3712 // L -> Reg lro=928 swapByteOffset=0 ti=16 vIdx=0 rIdx=0 oIdx=0 buffer=1 iui=0
/* localReadsVacancy: latencyLeft 3 */
s_waitcnt lgkmcnt(1)                               // lgkmcnt=0 vmcnt=-1wait for prior local read local write old=0, new=1 newLW=0 newLR=1
v_mfma_f32_16x16x1_4b_f32 a[0+0:15+0], v[vgprValuA_X0_I0+0+0+0], v[vgprG2LB+28+0], a[0:15]
/* numPrefetchIter=0 */
/* dataAtIterA=27 numReadsIterA=29 skipReadsIterA=1 readsPerIterA=1 */
/* dataAtIterB=27 numReadsIterB=29 skipReadsIterB=1 readsPerIterB=1 */


/* iter 29 (last unrolled loop) */

s_waitcnt vmcnt(2)                                 // lgkmcnt=-1 vmcnt=2global read wait for DirectToVgpr

/*  grEndMfmaIndex:0, lwStartMfmaIndex:29, lwEndMfmaIndex:29  */
/*  numMfmaForLR:0, barrierMfmaIndex:31, LocalWritePerMfma:0.165 */
/*  mfmaIndex:29  */
_ds_load_b32 v[vgprValuA_X0_I0+0], v[vgprLocalReadAddrA] offset:3840 // L -> Reg lro=960 swapByteOffset=0 ti=16 vIdx=0 rIdx=0 oIdx=0 buffer=0 iui=0
/* localReadsVacancy: latencyLeft 3 */
s_waitcnt lgkmcnt(1)                               // lgkmcnt=0 vmcnt=-1wait for prior local read local write old=0, new=1 newLW=0 newLR=1
v_mfma_f32_16x16x1_4b_f32 a[0+0:15+0], v[vgprValuA_X1_I0+0+0+0], v[vgprG2LB+29+0], a[0:15]
/* numPrefetchIter=0 */
/* dataAtIterA=28 numReadsIterA=30 skipReadsIterA=1 readsPerIterA=1 */
/* dataAtIterB=28 numReadsIterB=30 skipReadsIterB=1 readsPerIterB=1 */


/* iter 30 (last unrolled loop) */

s_waitcnt vmcnt(1)                                 // lgkmcnt=-1 vmcnt=1global read wait for DirectToVgpr

/*  grEndMfmaIndex:0, lwStartMfmaIndex:29, lwEndMfmaIndex:29  */
/*  numMfmaForLR:0, barrierMfmaIndex:31, LocalWritePerMfma:0.165 */
/*  mfmaIndex:30  */
_ds_load_b32 v[vgprValuA_X1_I0+0], v[vgprLocalReadAddrA] offset:3968 // L -> Reg lro=992 swapByteOffset=0 ti=16 vIdx=0 rIdx=0 oIdx=0 buffer=1 iui=0
/* localReadsVacancy: latencyLeft 3 */
s_waitcnt lgkmcnt(1)                               // lgkmcnt=0 vmcnt=-1wait for prior local read local write old=0, new=1 newLW=0 newLR=1
v_mfma_f32_16x16x1_4b_f32 a[0+0:15+0], v[vgprValuA_X0_I0+0+0+0], v[vgprG2LB+30+0], a[0:15]
/* numPrefetchIter=0 */
/* dataAtIterA=29 numReadsIterA=31 skipReadsIterA=1 readsPerIterA=1 */
/* dataAtIterB=29 numReadsIterB=31 skipReadsIterB=1 readsPerIterB=1 */


/* iter 31 (last unrolled loop) */

s_waitcnt vmcnt(0)                                 // lgkmcnt=-1 vmcnt=0global read wait for DirectToVgpr

/*  grEndMfmaIndex:0, lwStartMfmaIndex:29, lwEndMfmaIndex:29  */
/*  numMfmaForLR:0, barrierMfmaIndex:31, LocalWritePerMfma:0.165 */
/*  mfmaIndex:31  */
s_waitcnt lgkmcnt(0)                               // lgkmcnt=0 vmcnt=-1wait for prior local read local write old=0, new=0 newLW=0 newLR=0
v_mfma_f32_16x16x1_4b_f32 a[0+0:15+0], v[vgprValuA_X1_I0+0+0+0], v[vgprG2LB+31+0], a[0:15]
/* numPrefetchIter=0 */
/* dataAtIterA=30 numReadsIterA=31 skipReadsIterA=0 readsPerIterA=1 */
/* dataAtIterB=30 numReadsIterB=31 skipReadsIterB=0 readsPerIterB=1 */

s_branch label_0021                                // Skip even code
label_0020: // EvenStartNoLoadLoopOpt 


	;; [unrolled: 1-line block ×3, first 2 shown]
/* iter 0 (last unrolled loop) */

s_waitcnt vmcnt(31)                                // lgkmcnt=-1 vmcnt=31global read wait for DirectToVgpr

/*  grEndMfmaIndex:0, lwStartMfmaIndex:29, lwEndMfmaIndex:29  */
/*  numMfmaForLR:0, barrierMfmaIndex:31, LocalWritePerMfma:0.165 */
/*  mfmaIndex:0  */
_ds_load_b32 v[vgprValuA_X1_I0+0], v[vgprLocalReadAddrA] offset:128 // L -> Reg lro=32 swapByteOffset=0 ti=16 vIdx=0 rIdx=0 oIdx=0 buffer=1 iui=0
/* localReadsVacancy: latencyLeft 3 */
s_waitcnt lgkmcnt(1)                               // lgkmcnt=0 vmcnt=-1wait for prior local read local write old=0, new=1 newLW=0 newLR=1
v_mfma_f32_16x16x1_4b_f32 a[0+0:15+0], v[vgprValuA_X0_I0+0+0+0], v[vgprG2LB+32+0], a[0:15]
/* numPrefetchIter=0 */
/* dataAtIterA=-1 numReadsIterA=1 skipReadsIterA=1 readsPerIterA=1 */
/* dataAtIterB=-1 numReadsIterB=1 skipReadsIterB=1 readsPerIterB=1 */


/* iter 1 (last unrolled loop) */

s_waitcnt vmcnt(30)                                // lgkmcnt=-1 vmcnt=30global read wait for DirectToVgpr

/*  grEndMfmaIndex:0, lwStartMfmaIndex:29, lwEndMfmaIndex:29  */
/*  numMfmaForLR:0, barrierMfmaIndex:31, LocalWritePerMfma:0.165 */
/*  mfmaIndex:1  */
_ds_load_b32 v[vgprValuA_X0_I0+0], v[vgprLocalReadAddrA] offset:256 // L -> Reg lro=64 swapByteOffset=0 ti=16 vIdx=0 rIdx=0 oIdx=0 buffer=0 iui=0
/* localReadsVacancy: latencyLeft 3 */
s_waitcnt lgkmcnt(1)                               // lgkmcnt=0 vmcnt=-1wait for prior local read local write old=0, new=1 newLW=0 newLR=1
v_mfma_f32_16x16x1_4b_f32 a[0+0:15+0], v[vgprValuA_X1_I0+0+0+0], v[vgprG2LB+33+0], a[0:15]
/* numPrefetchIter=0 */
/* dataAtIterA=0 numReadsIterA=2 skipReadsIterA=1 readsPerIterA=1 */
/* dataAtIterB=0 numReadsIterB=2 skipReadsIterB=1 readsPerIterB=1 */


/* iter 2 (last unrolled loop) */

s_waitcnt vmcnt(29)                                // lgkmcnt=-1 vmcnt=29global read wait for DirectToVgpr

/*  grEndMfmaIndex:0, lwStartMfmaIndex:29, lwEndMfmaIndex:29  */
/*  numMfmaForLR:0, barrierMfmaIndex:31, LocalWritePerMfma:0.165 */
/*  mfmaIndex:2  */
_ds_load_b32 v[vgprValuA_X1_I0+0], v[vgprLocalReadAddrA] offset:384 // L -> Reg lro=96 swapByteOffset=0 ti=16 vIdx=0 rIdx=0 oIdx=0 buffer=1 iui=0
/* localReadsVacancy: latencyLeft 3 */
s_waitcnt lgkmcnt(1)                               // lgkmcnt=0 vmcnt=-1wait for prior local read local write old=0, new=1 newLW=0 newLR=1
v_mfma_f32_16x16x1_4b_f32 a[0+0:15+0], v[vgprValuA_X0_I0+0+0+0], v[vgprG2LB+34+0], a[0:15]
/* numPrefetchIter=0 */
/* dataAtIterA=1 numReadsIterA=3 skipReadsIterA=1 readsPerIterA=1 */
/* dataAtIterB=1 numReadsIterB=3 skipReadsIterB=1 readsPerIterB=1 */


/* iter 3 (last unrolled loop) */

s_waitcnt vmcnt(28)                                // lgkmcnt=-1 vmcnt=28global read wait for DirectToVgpr

/*  grEndMfmaIndex:0, lwStartMfmaIndex:29, lwEndMfmaIndex:29  */
/*  numMfmaForLR:0, barrierMfmaIndex:31, LocalWritePerMfma:0.165 */
/*  mfmaIndex:3  */
_ds_load_b32 v[vgprValuA_X0_I0+0], v[vgprLocalReadAddrA] offset:512 // L -> Reg lro=128 swapByteOffset=0 ti=16 vIdx=0 rIdx=0 oIdx=0 buffer=0 iui=0
/* localReadsVacancy: latencyLeft 3 */
s_waitcnt lgkmcnt(1)                               // lgkmcnt=0 vmcnt=-1wait for prior local read local write old=0, new=1 newLW=0 newLR=1
v_mfma_f32_16x16x1_4b_f32 a[0+0:15+0], v[vgprValuA_X1_I0+0+0+0], v[vgprG2LB+35+0], a[0:15]
/* numPrefetchIter=0 */
/* dataAtIterA=2 numReadsIterA=4 skipReadsIterA=1 readsPerIterA=1 */
/* dataAtIterB=2 numReadsIterB=4 skipReadsIterB=1 readsPerIterB=1 */


/* iter 4 (last unrolled loop) */

s_waitcnt vmcnt(27)                                // lgkmcnt=-1 vmcnt=27global read wait for DirectToVgpr

/*  grEndMfmaIndex:0, lwStartMfmaIndex:29, lwEndMfmaIndex:29  */
/*  numMfmaForLR:0, barrierMfmaIndex:31, LocalWritePerMfma:0.165 */
/*  mfmaIndex:4  */
_ds_load_b32 v[vgprValuA_X1_I0+0], v[vgprLocalReadAddrA] offset:640 // L -> Reg lro=160 swapByteOffset=0 ti=16 vIdx=0 rIdx=0 oIdx=0 buffer=1 iui=0
/* localReadsVacancy: latencyLeft 3 */
s_waitcnt lgkmcnt(1)                               // lgkmcnt=0 vmcnt=-1wait for prior local read local write old=0, new=1 newLW=0 newLR=1
v_mfma_f32_16x16x1_4b_f32 a[0+0:15+0], v[vgprValuA_X0_I0+0+0+0], v[vgprG2LB+36+0], a[0:15]
/* numPrefetchIter=0 */
/* dataAtIterA=3 numReadsIterA=5 skipReadsIterA=1 readsPerIterA=1 */
/* dataAtIterB=3 numReadsIterB=5 skipReadsIterB=1 readsPerIterB=1 */


/* iter 5 (last unrolled loop) */

s_waitcnt vmcnt(26)                                // lgkmcnt=-1 vmcnt=26global read wait for DirectToVgpr

/*  grEndMfmaIndex:0, lwStartMfmaIndex:29, lwEndMfmaIndex:29  */
/*  numMfmaForLR:0, barrierMfmaIndex:31, LocalWritePerMfma:0.165 */
/*  mfmaIndex:5  */
_ds_load_b32 v[vgprValuA_X0_I0+0], v[vgprLocalReadAddrA] offset:768 // L -> Reg lro=192 swapByteOffset=0 ti=16 vIdx=0 rIdx=0 oIdx=0 buffer=0 iui=0
/* localReadsVacancy: latencyLeft 3 */
s_waitcnt lgkmcnt(1)                               // lgkmcnt=0 vmcnt=-1wait for prior local read local write old=0, new=1 newLW=0 newLR=1
v_mfma_f32_16x16x1_4b_f32 a[0+0:15+0], v[vgprValuA_X1_I0+0+0+0], v[vgprG2LB+37+0], a[0:15]
/* numPrefetchIter=0 */
/* dataAtIterA=4 numReadsIterA=6 skipReadsIterA=1 readsPerIterA=1 */
/* dataAtIterB=4 numReadsIterB=6 skipReadsIterB=1 readsPerIterB=1 */


/* iter 6 (last unrolled loop) */

s_waitcnt vmcnt(25)                                // lgkmcnt=-1 vmcnt=25global read wait for DirectToVgpr

/*  grEndMfmaIndex:0, lwStartMfmaIndex:29, lwEndMfmaIndex:29  */
/*  numMfmaForLR:0, barrierMfmaIndex:31, LocalWritePerMfma:0.165 */
/*  mfmaIndex:6  */
_ds_load_b32 v[vgprValuA_X1_I0+0], v[vgprLocalReadAddrA] offset:896 // L -> Reg lro=224 swapByteOffset=0 ti=16 vIdx=0 rIdx=0 oIdx=0 buffer=1 iui=0
/* localReadsVacancy: latencyLeft 3 */
s_waitcnt lgkmcnt(1)                               // lgkmcnt=0 vmcnt=-1wait for prior local read local write old=0, new=1 newLW=0 newLR=1
v_mfma_f32_16x16x1_4b_f32 a[0+0:15+0], v[vgprValuA_X0_I0+0+0+0], v[vgprG2LB+38+0], a[0:15]
/* numPrefetchIter=0 */
/* dataAtIterA=5 numReadsIterA=7 skipReadsIterA=1 readsPerIterA=1 */
/* dataAtIterB=5 numReadsIterB=7 skipReadsIterB=1 readsPerIterB=1 */


/* iter 7 (last unrolled loop) */

s_waitcnt vmcnt(24)                                // lgkmcnt=-1 vmcnt=24global read wait for DirectToVgpr

/*  grEndMfmaIndex:0, lwStartMfmaIndex:29, lwEndMfmaIndex:29  */
/*  numMfmaForLR:0, barrierMfmaIndex:31, LocalWritePerMfma:0.165 */
/*  mfmaIndex:7  */
_ds_load_b32 v[vgprValuA_X0_I0+0], v[vgprLocalReadAddrA] offset:1024 // L -> Reg lro=256 swapByteOffset=0 ti=16 vIdx=0 rIdx=0 oIdx=0 buffer=0 iui=0
/* localReadsVacancy: latencyLeft 3 */
s_waitcnt lgkmcnt(1)                               // lgkmcnt=0 vmcnt=-1wait for prior local read local write old=0, new=1 newLW=0 newLR=1
v_mfma_f32_16x16x1_4b_f32 a[0+0:15+0], v[vgprValuA_X1_I0+0+0+0], v[vgprG2LB+39+0], a[0:15]
/* numPrefetchIter=0 */
/* dataAtIterA=6 numReadsIterA=8 skipReadsIterA=1 readsPerIterA=1 */
/* dataAtIterB=6 numReadsIterB=8 skipReadsIterB=1 readsPerIterB=1 */


/* iter 8 (last unrolled loop) */

s_waitcnt vmcnt(23)                                // lgkmcnt=-1 vmcnt=23global read wait for DirectToVgpr

/*  grEndMfmaIndex:0, lwStartMfmaIndex:29, lwEndMfmaIndex:29  */
/*  numMfmaForLR:0, barrierMfmaIndex:31, LocalWritePerMfma:0.165 */
/*  mfmaIndex:8  */
_ds_load_b32 v[vgprValuA_X1_I0+0], v[vgprLocalReadAddrA] offset:1152 // L -> Reg lro=288 swapByteOffset=0 ti=16 vIdx=0 rIdx=0 oIdx=0 buffer=1 iui=0
/* localReadsVacancy: latencyLeft 3 */
s_waitcnt lgkmcnt(1)                               // lgkmcnt=0 vmcnt=-1wait for prior local read local write old=0, new=1 newLW=0 newLR=1
v_mfma_f32_16x16x1_4b_f32 a[0+0:15+0], v[vgprValuA_X0_I0+0+0+0], v[vgprG2LB+40+0], a[0:15]
/* numPrefetchIter=0 */
/* dataAtIterA=7 numReadsIterA=9 skipReadsIterA=1 readsPerIterA=1 */
/* dataAtIterB=7 numReadsIterB=9 skipReadsIterB=1 readsPerIterB=1 */


/* iter 9 (last unrolled loop) */

s_waitcnt vmcnt(22)                                // lgkmcnt=-1 vmcnt=22global read wait for DirectToVgpr

/*  grEndMfmaIndex:0, lwStartMfmaIndex:29, lwEndMfmaIndex:29  */
/*  numMfmaForLR:0, barrierMfmaIndex:31, LocalWritePerMfma:0.165 */
/*  mfmaIndex:9  */
_ds_load_b32 v[vgprValuA_X0_I0+0], v[vgprLocalReadAddrA] offset:1280 // L -> Reg lro=320 swapByteOffset=0 ti=16 vIdx=0 rIdx=0 oIdx=0 buffer=0 iui=0
/* localReadsVacancy: latencyLeft 3 */
s_waitcnt lgkmcnt(1)                               // lgkmcnt=0 vmcnt=-1wait for prior local read local write old=0, new=1 newLW=0 newLR=1
v_mfma_f32_16x16x1_4b_f32 a[0+0:15+0], v[vgprValuA_X1_I0+0+0+0], v[vgprG2LB+41+0], a[0:15]
/* numPrefetchIter=0 */
/* dataAtIterA=8 numReadsIterA=10 skipReadsIterA=1 readsPerIterA=1 */
/* dataAtIterB=8 numReadsIterB=10 skipReadsIterB=1 readsPerIterB=1 */


/* iter 10 (last unrolled loop) */

s_waitcnt vmcnt(21)                                // lgkmcnt=-1 vmcnt=21global read wait for DirectToVgpr

/*  grEndMfmaIndex:0, lwStartMfmaIndex:29, lwEndMfmaIndex:29  */
/*  numMfmaForLR:0, barrierMfmaIndex:31, LocalWritePerMfma:0.165 */
/*  mfmaIndex:10  */
_ds_load_b32 v[vgprValuA_X1_I0+0], v[vgprLocalReadAddrA] offset:1408 // L -> Reg lro=352 swapByteOffset=0 ti=16 vIdx=0 rIdx=0 oIdx=0 buffer=1 iui=0
/* localReadsVacancy: latencyLeft 3 */
s_waitcnt lgkmcnt(1)                               // lgkmcnt=0 vmcnt=-1wait for prior local read local write old=0, new=1 newLW=0 newLR=1
v_mfma_f32_16x16x1_4b_f32 a[0+0:15+0], v[vgprValuA_X0_I0+0+0+0], v[vgprG2LB+42+0], a[0:15]
/* numPrefetchIter=0 */
/* dataAtIterA=9 numReadsIterA=11 skipReadsIterA=1 readsPerIterA=1 */
/* dataAtIterB=9 numReadsIterB=11 skipReadsIterB=1 readsPerIterB=1 */


/* iter 11 (last unrolled loop) */

s_waitcnt vmcnt(20)                                // lgkmcnt=-1 vmcnt=20global read wait for DirectToVgpr

/*  grEndMfmaIndex:0, lwStartMfmaIndex:29, lwEndMfmaIndex:29  */
/*  numMfmaForLR:0, barrierMfmaIndex:31, LocalWritePerMfma:0.165 */
/*  mfmaIndex:11  */
_ds_load_b32 v[vgprValuA_X0_I0+0], v[vgprLocalReadAddrA] offset:1536 // L -> Reg lro=384 swapByteOffset=0 ti=16 vIdx=0 rIdx=0 oIdx=0 buffer=0 iui=0
/* localReadsVacancy: latencyLeft 3 */
s_waitcnt lgkmcnt(1)                               // lgkmcnt=0 vmcnt=-1wait for prior local read local write old=0, new=1 newLW=0 newLR=1
v_mfma_f32_16x16x1_4b_f32 a[0+0:15+0], v[vgprValuA_X1_I0+0+0+0], v[vgprG2LB+43+0], a[0:15]
/* numPrefetchIter=0 */
/* dataAtIterA=10 numReadsIterA=12 skipReadsIterA=1 readsPerIterA=1 */
/* dataAtIterB=10 numReadsIterB=12 skipReadsIterB=1 readsPerIterB=1 */


/* iter 12 (last unrolled loop) */

s_waitcnt vmcnt(19)                                // lgkmcnt=-1 vmcnt=19global read wait for DirectToVgpr

/*  grEndMfmaIndex:0, lwStartMfmaIndex:29, lwEndMfmaIndex:29  */
/*  numMfmaForLR:0, barrierMfmaIndex:31, LocalWritePerMfma:0.165 */
/*  mfmaIndex:12  */
_ds_load_b32 v[vgprValuA_X1_I0+0], v[vgprLocalReadAddrA] offset:1664 // L -> Reg lro=416 swapByteOffset=0 ti=16 vIdx=0 rIdx=0 oIdx=0 buffer=1 iui=0
/* localReadsVacancy: latencyLeft 3 */
s_waitcnt lgkmcnt(1)                               // lgkmcnt=0 vmcnt=-1wait for prior local read local write old=0, new=1 newLW=0 newLR=1
v_mfma_f32_16x16x1_4b_f32 a[0+0:15+0], v[vgprValuA_X0_I0+0+0+0], v[vgprG2LB+44+0], a[0:15]
/* numPrefetchIter=0 */
/* dataAtIterA=11 numReadsIterA=13 skipReadsIterA=1 readsPerIterA=1 */
/* dataAtIterB=11 numReadsIterB=13 skipReadsIterB=1 readsPerIterB=1 */


/* iter 13 (last unrolled loop) */

s_waitcnt vmcnt(18)                                // lgkmcnt=-1 vmcnt=18global read wait for DirectToVgpr

/*  grEndMfmaIndex:0, lwStartMfmaIndex:29, lwEndMfmaIndex:29  */
/*  numMfmaForLR:0, barrierMfmaIndex:31, LocalWritePerMfma:0.165 */
/*  mfmaIndex:13  */
_ds_load_b32 v[vgprValuA_X0_I0+0], v[vgprLocalReadAddrA] offset:1792 // L -> Reg lro=448 swapByteOffset=0 ti=16 vIdx=0 rIdx=0 oIdx=0 buffer=0 iui=0
/* localReadsVacancy: latencyLeft 3 */
s_waitcnt lgkmcnt(1)                               // lgkmcnt=0 vmcnt=-1wait for prior local read local write old=0, new=1 newLW=0 newLR=1
v_mfma_f32_16x16x1_4b_f32 a[0+0:15+0], v[vgprValuA_X1_I0+0+0+0], v[vgprG2LB+45+0], a[0:15]
/* numPrefetchIter=0 */
/* dataAtIterA=12 numReadsIterA=14 skipReadsIterA=1 readsPerIterA=1 */
/* dataAtIterB=12 numReadsIterB=14 skipReadsIterB=1 readsPerIterB=1 */


/* iter 14 (last unrolled loop) */

s_waitcnt vmcnt(17)                                // lgkmcnt=-1 vmcnt=17global read wait for DirectToVgpr

/*  grEndMfmaIndex:0, lwStartMfmaIndex:29, lwEndMfmaIndex:29  */
/*  numMfmaForLR:0, barrierMfmaIndex:31, LocalWritePerMfma:0.165 */
/*  mfmaIndex:14  */
_ds_load_b32 v[vgprValuA_X1_I0+0], v[vgprLocalReadAddrA] offset:1920 // L -> Reg lro=480 swapByteOffset=0 ti=16 vIdx=0 rIdx=0 oIdx=0 buffer=1 iui=0
/* localReadsVacancy: latencyLeft 3 */
s_waitcnt lgkmcnt(1)                               // lgkmcnt=0 vmcnt=-1wait for prior local read local write old=0, new=1 newLW=0 newLR=1
v_mfma_f32_16x16x1_4b_f32 a[0+0:15+0], v[vgprValuA_X0_I0+0+0+0], v[vgprG2LB+46+0], a[0:15]
/* numPrefetchIter=0 */
/* dataAtIterA=13 numReadsIterA=15 skipReadsIterA=1 readsPerIterA=1 */
/* dataAtIterB=13 numReadsIterB=15 skipReadsIterB=1 readsPerIterB=1 */


/* iter 15 (last unrolled loop) */

s_waitcnt vmcnt(16)                                // lgkmcnt=-1 vmcnt=16global read wait for DirectToVgpr

/*  grEndMfmaIndex:0, lwStartMfmaIndex:29, lwEndMfmaIndex:29  */
/*  numMfmaForLR:0, barrierMfmaIndex:31, LocalWritePerMfma:0.165 */
/*  mfmaIndex:15  */
_ds_load_b32 v[vgprValuA_X0_I0+0], v[vgprLocalReadAddrA] offset:2048 // L -> Reg lro=512 swapByteOffset=0 ti=16 vIdx=0 rIdx=0 oIdx=0 buffer=0 iui=0
/* localReadsVacancy: latencyLeft 3 */
s_waitcnt lgkmcnt(1)                               // lgkmcnt=0 vmcnt=-1wait for prior local read local write old=0, new=1 newLW=0 newLR=1
v_mfma_f32_16x16x1_4b_f32 a[0+0:15+0], v[vgprValuA_X1_I0+0+0+0], v[vgprG2LB+47+0], a[0:15]
/* numPrefetchIter=0 */
/* dataAtIterA=14 numReadsIterA=16 skipReadsIterA=1 readsPerIterA=1 */
/* dataAtIterB=14 numReadsIterB=16 skipReadsIterB=1 readsPerIterB=1 */


/* iter 16 (last unrolled loop) */

s_waitcnt vmcnt(15)                                // lgkmcnt=-1 vmcnt=15global read wait for DirectToVgpr

/*  grEndMfmaIndex:0, lwStartMfmaIndex:29, lwEndMfmaIndex:29  */
/*  numMfmaForLR:0, barrierMfmaIndex:31, LocalWritePerMfma:0.165 */
/*  mfmaIndex:16  */
_ds_load_b32 v[vgprValuA_X1_I0+0], v[vgprLocalReadAddrA] offset:2176 // L -> Reg lro=544 swapByteOffset=0 ti=16 vIdx=0 rIdx=0 oIdx=0 buffer=1 iui=0
/* localReadsVacancy: latencyLeft 3 */
s_waitcnt lgkmcnt(1)                               // lgkmcnt=0 vmcnt=-1wait for prior local read local write old=0, new=1 newLW=0 newLR=1
v_mfma_f32_16x16x1_4b_f32 a[0+0:15+0], v[vgprValuA_X0_I0+0+0+0], v[vgprG2LB+48+0], a[0:15]
/* numPrefetchIter=0 */
/* dataAtIterA=15 numReadsIterA=17 skipReadsIterA=1 readsPerIterA=1 */
/* dataAtIterB=15 numReadsIterB=17 skipReadsIterB=1 readsPerIterB=1 */


/* iter 17 (last unrolled loop) */

s_waitcnt vmcnt(14)                                // lgkmcnt=-1 vmcnt=14global read wait for DirectToVgpr

/*  grEndMfmaIndex:0, lwStartMfmaIndex:29, lwEndMfmaIndex:29  */
/*  numMfmaForLR:0, barrierMfmaIndex:31, LocalWritePerMfma:0.165 */
/*  mfmaIndex:17  */
_ds_load_b32 v[vgprValuA_X0_I0+0], v[vgprLocalReadAddrA] offset:2304 // L -> Reg lro=576 swapByteOffset=0 ti=16 vIdx=0 rIdx=0 oIdx=0 buffer=0 iui=0
/* localReadsVacancy: latencyLeft 3 */
s_waitcnt lgkmcnt(1)                               // lgkmcnt=0 vmcnt=-1wait for prior local read local write old=0, new=1 newLW=0 newLR=1
v_mfma_f32_16x16x1_4b_f32 a[0+0:15+0], v[vgprValuA_X1_I0+0+0+0], v[vgprG2LB+49+0], a[0:15]
/* numPrefetchIter=0 */
/* dataAtIterA=16 numReadsIterA=18 skipReadsIterA=1 readsPerIterA=1 */
/* dataAtIterB=16 numReadsIterB=18 skipReadsIterB=1 readsPerIterB=1 */


/* iter 18 (last unrolled loop) */

s_waitcnt vmcnt(13)                                // lgkmcnt=-1 vmcnt=13global read wait for DirectToVgpr

/*  grEndMfmaIndex:0, lwStartMfmaIndex:29, lwEndMfmaIndex:29  */
/*  numMfmaForLR:0, barrierMfmaIndex:31, LocalWritePerMfma:0.165 */
/*  mfmaIndex:18  */
_ds_load_b32 v[vgprValuA_X1_I0+0], v[vgprLocalReadAddrA] offset:2432 // L -> Reg lro=608 swapByteOffset=0 ti=16 vIdx=0 rIdx=0 oIdx=0 buffer=1 iui=0
/* localReadsVacancy: latencyLeft 3 */
s_waitcnt lgkmcnt(1)                               // lgkmcnt=0 vmcnt=-1wait for prior local read local write old=0, new=1 newLW=0 newLR=1
v_mfma_f32_16x16x1_4b_f32 a[0+0:15+0], v[vgprValuA_X0_I0+0+0+0], v[vgprG2LB+50+0], a[0:15]
/* numPrefetchIter=0 */
/* dataAtIterA=17 numReadsIterA=19 skipReadsIterA=1 readsPerIterA=1 */
/* dataAtIterB=17 numReadsIterB=19 skipReadsIterB=1 readsPerIterB=1 */


/* iter 19 (last unrolled loop) */

s_waitcnt vmcnt(12)                                // lgkmcnt=-1 vmcnt=12global read wait for DirectToVgpr

/*  grEndMfmaIndex:0, lwStartMfmaIndex:29, lwEndMfmaIndex:29  */
/*  numMfmaForLR:0, barrierMfmaIndex:31, LocalWritePerMfma:0.165 */
/*  mfmaIndex:19  */
_ds_load_b32 v[vgprValuA_X0_I0+0], v[vgprLocalReadAddrA] offset:2560 // L -> Reg lro=640 swapByteOffset=0 ti=16 vIdx=0 rIdx=0 oIdx=0 buffer=0 iui=0
/* localReadsVacancy: latencyLeft 3 */
s_waitcnt lgkmcnt(1)                               // lgkmcnt=0 vmcnt=-1wait for prior local read local write old=0, new=1 newLW=0 newLR=1
v_mfma_f32_16x16x1_4b_f32 a[0+0:15+0], v[vgprValuA_X1_I0+0+0+0], v[vgprG2LB+51+0], a[0:15]
/* numPrefetchIter=0 */
/* dataAtIterA=18 numReadsIterA=20 skipReadsIterA=1 readsPerIterA=1 */
/* dataAtIterB=18 numReadsIterB=20 skipReadsIterB=1 readsPerIterB=1 */


/* iter 20 (last unrolled loop) */

s_waitcnt vmcnt(11)                                // lgkmcnt=-1 vmcnt=11global read wait for DirectToVgpr

/*  grEndMfmaIndex:0, lwStartMfmaIndex:29, lwEndMfmaIndex:29  */
/*  numMfmaForLR:0, barrierMfmaIndex:31, LocalWritePerMfma:0.165 */
/*  mfmaIndex:20  */
_ds_load_b32 v[vgprValuA_X1_I0+0], v[vgprLocalReadAddrA] offset:2688 // L -> Reg lro=672 swapByteOffset=0 ti=16 vIdx=0 rIdx=0 oIdx=0 buffer=1 iui=0
/* localReadsVacancy: latencyLeft 3 */
s_waitcnt lgkmcnt(1)                               // lgkmcnt=0 vmcnt=-1wait for prior local read local write old=0, new=1 newLW=0 newLR=1
v_mfma_f32_16x16x1_4b_f32 a[0+0:15+0], v[vgprValuA_X0_I0+0+0+0], v[vgprG2LB+52+0], a[0:15]
/* numPrefetchIter=0 */
/* dataAtIterA=19 numReadsIterA=21 skipReadsIterA=1 readsPerIterA=1 */
/* dataAtIterB=19 numReadsIterB=21 skipReadsIterB=1 readsPerIterB=1 */


/* iter 21 (last unrolled loop) */

s_waitcnt vmcnt(10)                                // lgkmcnt=-1 vmcnt=10global read wait for DirectToVgpr

/*  grEndMfmaIndex:0, lwStartMfmaIndex:29, lwEndMfmaIndex:29  */
/*  numMfmaForLR:0, barrierMfmaIndex:31, LocalWritePerMfma:0.165 */
/*  mfmaIndex:21  */
_ds_load_b32 v[vgprValuA_X0_I0+0], v[vgprLocalReadAddrA] offset:2816 // L -> Reg lro=704 swapByteOffset=0 ti=16 vIdx=0 rIdx=0 oIdx=0 buffer=0 iui=0
/* localReadsVacancy: latencyLeft 3 */
s_waitcnt lgkmcnt(1)                               // lgkmcnt=0 vmcnt=-1wait for prior local read local write old=0, new=1 newLW=0 newLR=1
v_mfma_f32_16x16x1_4b_f32 a[0+0:15+0], v[vgprValuA_X1_I0+0+0+0], v[vgprG2LB+53+0], a[0:15]
/* numPrefetchIter=0 */
/* dataAtIterA=20 numReadsIterA=22 skipReadsIterA=1 readsPerIterA=1 */
/* dataAtIterB=20 numReadsIterB=22 skipReadsIterB=1 readsPerIterB=1 */


/* iter 22 (last unrolled loop) */

s_waitcnt vmcnt(9)                                 // lgkmcnt=-1 vmcnt=9global read wait for DirectToVgpr

/*  grEndMfmaIndex:0, lwStartMfmaIndex:29, lwEndMfmaIndex:29  */
/*  numMfmaForLR:0, barrierMfmaIndex:31, LocalWritePerMfma:0.165 */
/*  mfmaIndex:22  */
_ds_load_b32 v[vgprValuA_X1_I0+0], v[vgprLocalReadAddrA] offset:2944 // L -> Reg lro=736 swapByteOffset=0 ti=16 vIdx=0 rIdx=0 oIdx=0 buffer=1 iui=0
/* localReadsVacancy: latencyLeft 3 */
s_waitcnt lgkmcnt(1)                               // lgkmcnt=0 vmcnt=-1wait for prior local read local write old=0, new=1 newLW=0 newLR=1
v_mfma_f32_16x16x1_4b_f32 a[0+0:15+0], v[vgprValuA_X0_I0+0+0+0], v[vgprG2LB+54+0], a[0:15]
/* numPrefetchIter=0 */
/* dataAtIterA=21 numReadsIterA=23 skipReadsIterA=1 readsPerIterA=1 */
/* dataAtIterB=21 numReadsIterB=23 skipReadsIterB=1 readsPerIterB=1 */


/* iter 23 (last unrolled loop) */

s_waitcnt vmcnt(8)                                 // lgkmcnt=-1 vmcnt=8global read wait for DirectToVgpr

/*  grEndMfmaIndex:0, lwStartMfmaIndex:29, lwEndMfmaIndex:29  */
/*  numMfmaForLR:0, barrierMfmaIndex:31, LocalWritePerMfma:0.165 */
/*  mfmaIndex:23  */
_ds_load_b32 v[vgprValuA_X0_I0+0], v[vgprLocalReadAddrA] offset:3072 // L -> Reg lro=768 swapByteOffset=0 ti=16 vIdx=0 rIdx=0 oIdx=0 buffer=0 iui=0
/* localReadsVacancy: latencyLeft 3 */
s_waitcnt lgkmcnt(1)                               // lgkmcnt=0 vmcnt=-1wait for prior local read local write old=0, new=1 newLW=0 newLR=1
v_mfma_f32_16x16x1_4b_f32 a[0+0:15+0], v[vgprValuA_X1_I0+0+0+0], v[vgprG2LB+55+0], a[0:15]
/* numPrefetchIter=0 */
/* dataAtIterA=22 numReadsIterA=24 skipReadsIterA=1 readsPerIterA=1 */
/* dataAtIterB=22 numReadsIterB=24 skipReadsIterB=1 readsPerIterB=1 */


/* iter 24 (last unrolled loop) */

s_waitcnt vmcnt(7)                                 // lgkmcnt=-1 vmcnt=7global read wait for DirectToVgpr

/*  grEndMfmaIndex:0, lwStartMfmaIndex:29, lwEndMfmaIndex:29  */
/*  numMfmaForLR:0, barrierMfmaIndex:31, LocalWritePerMfma:0.165 */
/*  mfmaIndex:24  */
_ds_load_b32 v[vgprValuA_X1_I0+0], v[vgprLocalReadAddrA] offset:3200 // L -> Reg lro=800 swapByteOffset=0 ti=16 vIdx=0 rIdx=0 oIdx=0 buffer=1 iui=0
/* localReadsVacancy: latencyLeft 3 */
s_waitcnt lgkmcnt(1)                               // lgkmcnt=0 vmcnt=-1wait for prior local read local write old=0, new=1 newLW=0 newLR=1
v_mfma_f32_16x16x1_4b_f32 a[0+0:15+0], v[vgprValuA_X0_I0+0+0+0], v[vgprG2LB+56+0], a[0:15]
/* numPrefetchIter=0 */
/* dataAtIterA=23 numReadsIterA=25 skipReadsIterA=1 readsPerIterA=1 */
/* dataAtIterB=23 numReadsIterB=25 skipReadsIterB=1 readsPerIterB=1 */


/* iter 25 (last unrolled loop) */

s_waitcnt vmcnt(6)                                 // lgkmcnt=-1 vmcnt=6global read wait for DirectToVgpr

/*  grEndMfmaIndex:0, lwStartMfmaIndex:29, lwEndMfmaIndex:29  */
/*  numMfmaForLR:0, barrierMfmaIndex:31, LocalWritePerMfma:0.165 */
/*  mfmaIndex:25  */
_ds_load_b32 v[vgprValuA_X0_I0+0], v[vgprLocalReadAddrA] offset:3328 // L -> Reg lro=832 swapByteOffset=0 ti=16 vIdx=0 rIdx=0 oIdx=0 buffer=0 iui=0
/* localReadsVacancy: latencyLeft 3 */
s_waitcnt lgkmcnt(1)                               // lgkmcnt=0 vmcnt=-1wait for prior local read local write old=0, new=1 newLW=0 newLR=1
v_mfma_f32_16x16x1_4b_f32 a[0+0:15+0], v[vgprValuA_X1_I0+0+0+0], v[vgprG2LB+57+0], a[0:15]
/* numPrefetchIter=0 */
/* dataAtIterA=24 numReadsIterA=26 skipReadsIterA=1 readsPerIterA=1 */
/* dataAtIterB=24 numReadsIterB=26 skipReadsIterB=1 readsPerIterB=1 */


/* iter 26 (last unrolled loop) */

s_waitcnt vmcnt(5)                                 // lgkmcnt=-1 vmcnt=5global read wait for DirectToVgpr

/*  grEndMfmaIndex:0, lwStartMfmaIndex:29, lwEndMfmaIndex:29  */
/*  numMfmaForLR:0, barrierMfmaIndex:31, LocalWritePerMfma:0.165 */
/*  mfmaIndex:26  */
_ds_load_b32 v[vgprValuA_X1_I0+0], v[vgprLocalReadAddrA] offset:3456 // L -> Reg lro=864 swapByteOffset=0 ti=16 vIdx=0 rIdx=0 oIdx=0 buffer=1 iui=0
/* localReadsVacancy: latencyLeft 3 */
s_waitcnt lgkmcnt(1)                               // lgkmcnt=0 vmcnt=-1wait for prior local read local write old=0, new=1 newLW=0 newLR=1
v_mfma_f32_16x16x1_4b_f32 a[0+0:15+0], v[vgprValuA_X0_I0+0+0+0], v[vgprG2LB+58+0], a[0:15]
/* numPrefetchIter=0 */
/* dataAtIterA=25 numReadsIterA=27 skipReadsIterA=1 readsPerIterA=1 */
/* dataAtIterB=25 numReadsIterB=27 skipReadsIterB=1 readsPerIterB=1 */


/* iter 27 (last unrolled loop) */

s_waitcnt vmcnt(4)                                 // lgkmcnt=-1 vmcnt=4global read wait for DirectToVgpr

/*  grEndMfmaIndex:0, lwStartMfmaIndex:29, lwEndMfmaIndex:29  */
/*  numMfmaForLR:0, barrierMfmaIndex:31, LocalWritePerMfma:0.165 */
/*  mfmaIndex:27  */
_ds_load_b32 v[vgprValuA_X0_I0+0], v[vgprLocalReadAddrA] offset:3584 // L -> Reg lro=896 swapByteOffset=0 ti=16 vIdx=0 rIdx=0 oIdx=0 buffer=0 iui=0
/* localReadsVacancy: latencyLeft 3 */
s_waitcnt lgkmcnt(1)                               // lgkmcnt=0 vmcnt=-1wait for prior local read local write old=0, new=1 newLW=0 newLR=1
v_mfma_f32_16x16x1_4b_f32 a[0+0:15+0], v[vgprValuA_X1_I0+0+0+0], v[vgprG2LB+59+0], a[0:15]
/* numPrefetchIter=0 */
/* dataAtIterA=26 numReadsIterA=28 skipReadsIterA=1 readsPerIterA=1 */
/* dataAtIterB=26 numReadsIterB=28 skipReadsIterB=1 readsPerIterB=1 */


/* iter 28 (last unrolled loop) */

s_waitcnt vmcnt(3)                                 // lgkmcnt=-1 vmcnt=3global read wait for DirectToVgpr

/*  grEndMfmaIndex:0, lwStartMfmaIndex:29, lwEndMfmaIndex:29  */
/*  numMfmaForLR:0, barrierMfmaIndex:31, LocalWritePerMfma:0.165 */
/*  mfmaIndex:28  */
_ds_load_b32 v[vgprValuA_X1_I0+0], v[vgprLocalReadAddrA] offset:3712 // L -> Reg lro=928 swapByteOffset=0 ti=16 vIdx=0 rIdx=0 oIdx=0 buffer=1 iui=0
/* localReadsVacancy: latencyLeft 3 */
s_waitcnt lgkmcnt(1)                               // lgkmcnt=0 vmcnt=-1wait for prior local read local write old=0, new=1 newLW=0 newLR=1
v_mfma_f32_16x16x1_4b_f32 a[0+0:15+0], v[vgprValuA_X0_I0+0+0+0], v[vgprG2LB+60+0], a[0:15]
/* numPrefetchIter=0 */
/* dataAtIterA=27 numReadsIterA=29 skipReadsIterA=1 readsPerIterA=1 */
/* dataAtIterB=27 numReadsIterB=29 skipReadsIterB=1 readsPerIterB=1 */


/* iter 29 (last unrolled loop) */

s_waitcnt vmcnt(2)                                 // lgkmcnt=-1 vmcnt=2global read wait for DirectToVgpr

/*  grEndMfmaIndex:0, lwStartMfmaIndex:29, lwEndMfmaIndex:29  */
/*  numMfmaForLR:0, barrierMfmaIndex:31, LocalWritePerMfma:0.165 */
/*  mfmaIndex:29  */
_ds_load_b32 v[vgprValuA_X0_I0+0], v[vgprLocalReadAddrA] offset:3840 // L -> Reg lro=960 swapByteOffset=0 ti=16 vIdx=0 rIdx=0 oIdx=0 buffer=0 iui=0
/* localReadsVacancy: latencyLeft 3 */
s_waitcnt lgkmcnt(1)                               // lgkmcnt=0 vmcnt=-1wait for prior local read local write old=0, new=1 newLW=0 newLR=1
v_mfma_f32_16x16x1_4b_f32 a[0+0:15+0], v[vgprValuA_X1_I0+0+0+0], v[vgprG2LB+61+0], a[0:15]
/* numPrefetchIter=0 */
/* dataAtIterA=28 numReadsIterA=30 skipReadsIterA=1 readsPerIterA=1 */
/* dataAtIterB=28 numReadsIterB=30 skipReadsIterB=1 readsPerIterB=1 */


/* iter 30 (last unrolled loop) */

s_waitcnt vmcnt(1)                                 // lgkmcnt=-1 vmcnt=1global read wait for DirectToVgpr

/*  grEndMfmaIndex:0, lwStartMfmaIndex:29, lwEndMfmaIndex:29  */
/*  numMfmaForLR:0, barrierMfmaIndex:31, LocalWritePerMfma:0.165 */
/*  mfmaIndex:30  */
_ds_load_b32 v[vgprValuA_X1_I0+0], v[vgprLocalReadAddrA] offset:3968 // L -> Reg lro=992 swapByteOffset=0 ti=16 vIdx=0 rIdx=0 oIdx=0 buffer=1 iui=0
/* localReadsVacancy: latencyLeft 3 */
s_waitcnt lgkmcnt(1)                               // lgkmcnt=0 vmcnt=-1wait for prior local read local write old=0, new=1 newLW=0 newLR=1
v_mfma_f32_16x16x1_4b_f32 a[0+0:15+0], v[vgprValuA_X0_I0+0+0+0], v[vgprG2LB+62+0], a[0:15]
/* numPrefetchIter=0 */
/* dataAtIterA=29 numReadsIterA=31 skipReadsIterA=1 readsPerIterA=1 */
/* dataAtIterB=29 numReadsIterB=31 skipReadsIterB=1 readsPerIterB=1 */


/* iter 31 (last unrolled loop) */

s_waitcnt vmcnt(0)                                 // lgkmcnt=-1 vmcnt=0global read wait for DirectToVgpr

/*  grEndMfmaIndex:0, lwStartMfmaIndex:29, lwEndMfmaIndex:29  */
/*  numMfmaForLR:0, barrierMfmaIndex:31, LocalWritePerMfma:0.165 */
/*  mfmaIndex:31  */
s_waitcnt lgkmcnt(0)                               // lgkmcnt=0 vmcnt=-1wait for prior local read local write old=0, new=0 newLW=0 newLR=0
v_mfma_f32_16x16x1_4b_f32 a[0+0:15+0], v[vgprValuA_X1_I0+0+0+0], v[vgprG2LB+63+0], a[0:15]
/* numPrefetchIter=0 */
/* dataAtIterA=30 numReadsIterA=31 skipReadsIterA=0 readsPerIterA=1 */
/* dataAtIterB=30 numReadsIterB=31 skipReadsIterB=0 readsPerIterB=1 */

label_0021: // EvenEndNoLoadLoopOpt 

/* Stores for OptNLL */
Summation_End_OptNLL_22:
/* endSummation: add vgpr [0...104) to pool */
.set NumFullBlocks, UNDEF
.set WgmRemainder1, UNDEF
.set MagicNumberWgmRemainder1, UNDEF

/* Mapping of Acc register -> C Vgpr register */
/* computeStoreVgprs */
v_lshrrev_b32 v4, 6, v[vgprSerial]                 // v4 = v[vgprSerial] / 64
v_lshrrev_b32 v1, 0, v4                            // v1 = v4 / 1
v_mul_lo_u32 v1, 0x40, v1                          // wave coordination offset 1
v_and_b32 v5, 15, v[vgprSerial]                    // v5 = v[vgprSerial] % 16
_v_add_lshl_u32 v1, v5, v1, 0                      // coordination 1 = vwb *(wave_id1 + tid1)
v_mul_lo_u32 v2, v1, s[sgprStrideC1J]              //  offset 1
v_mul_lo_u32 v3, v1, s[sgprStrideD1J]              //  offset 1
v_and_b32 v0, 63, v[vgprSerial]                    // v0 = v[vgprSerial] % 64
v_lshrrev_b32 v0, 4, v0                            // v0 = v0 / 16
v_lshlrev_b32 v0, 0x2, v0                          // thread0 * continuous_output
v_and_b32 v5, 0, v4                                // v5 = v4 % 1
v_mul_lo_u32 v5, 0x10, v5                          // wave coordination offset 0
_v_add_lshl_u32 v0, v5, v0, 0                      // coordination 0 = vwa *(wave_id0 + tid0)
s_mul_i32 s53, 16, s[sgprWorkGroup0]               // wgp0 * MT0
_v_add_u32 v0, s53, v0                             // coord 0 = (tid0/MI_m)*4 + waveG0*MIB_m + MT0*SG0
s_mul_i32 s53, 256, s[sgprWorkGroup1]              // wgp1 * MT1
_v_add_u32 v1, s53, v1                             // coord 1 = (tid0%MI_m) + waveG1*MIB_n + MT1*SG1
GW_B0_E0_25:

/* edge=0, allocate 2 sgpr. perBatchTmpS=2 perBatchMaskS=0 perElementMaskS=0 elementsPerBatch=35 */
/* optSingleColVgpr=1 optSharedColVgpr=0 optSGPRUsage=BufferLoad_Mask optSrdIncForRow=1 */

/******************************************/
/* Global Write Batch #0 (d1,d0,vc1,vc0) = */
/*    (0,0,0,0:vw4); (1,0,0,0:vw4); (2,0,0,0:vw4); (3,0,0,0:vw4) */
/******************************************/

/* calc coords, apply mask, and issue loads (if necessary) */
/* (d1,vc1,d0,vc0)=(0,0,0,0) */
/* (d1,vc1,d0,vc0)=(1,0,0,0) */
/* (d1,vc1,d0,vc0)=(2,0,0,0) */
/* (d1,vc1,d0,vc0)=(3,0,0,0) */
_v_add_lshl_u32 v6, v3, v0, 0x2                    // optSingleColVgpr scaleToBpe: sharedAddrVgpr <- cinRowPtr + coord0, scaled by BPE. BSHERE:coord0=0, coord0Vgpr=0
v_accvgpr_read_b32 v[vgprValuC+8], acc0 // copy acc to vreg[0]
v_accvgpr_read_b32 v[vgprValuC+9], acc1 // copy acc to vreg[1]
v_accvgpr_read_b32 v[vgprValuC+10], acc2 // copy acc to vreg[2]
v_accvgpr_read_b32 v[vgprValuC+11], acc3 // copy acc to vreg[3]
v_accvgpr_read_b32 v[vgprValuC+12], acc4 // copy acc to vreg[4]
v_accvgpr_read_b32 v[vgprValuC+13], acc5 // copy acc to vreg[5]
v_accvgpr_read_b32 v[vgprValuC+14], acc6 // copy acc to vreg[6]
v_accvgpr_read_b32 v[vgprValuC+15], acc7 // copy acc to vreg[7]
v_accvgpr_read_b32 v[vgprValuC+16], acc8 // copy acc to vreg[8]
v_accvgpr_read_b32 v[vgprValuC+17], acc9 // copy acc to vreg[9]
v_accvgpr_read_b32 v[vgprValuC+18], acc10 // copy acc to vreg[10]
v_accvgpr_read_b32 v[vgprValuC+19], acc11 // copy acc to vreg[11]
v_accvgpr_read_b32 v[vgprValuC+20], acc12 // copy acc to vreg[12]
v_accvgpr_read_b32 v[vgprValuC+21], acc13 // copy acc to vreg[13]
v_accvgpr_read_b32 v[vgprValuC+22], acc14 // copy acc to vreg[14]
v_accvgpr_read_b32 v[vgprValuC+23], acc15 // copy acc to vreg[15]
s_nop 1                                            // 2 wait states required before reading vgpr

/* apply mask, calc new C and issue writes */
_buffer_store_b128 v[8:11], v6, s[sgprSrdD:sgprSrdD+3], 0, offen, offset:0 // store D
s_mul_i32 s54, s[sgprStrideD1J], 64                // scale StrideD *= numRows(16) * bpe
s_add_u32  s[sgprSrdD+0], s[sgprSrdD+0], s54       // incToNextRow: gra SRD += inc(lower)
s_addc_u32  s[sgprSrdD+1], s[sgprSrdD+1], 0        // incToNextRow: gra SRD += inc(upper)
_buffer_store_b128 v[12:15], v6, s[sgprSrdD:sgprSrdD+3], 0, offen, offset:0 // store D
s_mul_i32 s54, s[sgprStrideD1J], 64                // scale StrideD *= numRows(16) * bpe
s_add_u32  s[sgprSrdD+0], s[sgprSrdD+0], s54       // incToNextRow: gra SRD += inc(lower)
s_addc_u32  s[sgprSrdD+1], s[sgprSrdD+1], 0        // incToNextRow: gra SRD += inc(upper)
	;; [unrolled: 4-line block ×3, first 2 shown]
_buffer_store_b128 v[20:23], v6, s[sgprSrdD:sgprSrdD+3], 0, offen, offset:0 // store D
s_nop 0                                            // 1 wait state required when next inst writes vgprs held by previous dwordx4 store inst
s_branch label_GW_End_27                           // jump to end
label_GW_End_27:

s_endpgm                                           // Kernel End
OptNLL_End_19:


/******************************************/
/* Ord. NoLoadLoop - Begin                                      */
/******************************************/


s_and_b32 s56, s[sgprOrigLoopCounter], 1           // test if OrigLoopCounter is Odd ?
s_cbranch_scc0 label_0032                          // Skip odd code if OrigLoopCounter is Even


	;; [unrolled: 1-line block ×3, first 2 shown]
/* iter 0 (last unrolled loop) */

s_waitcnt vmcnt(31)                                // lgkmcnt=-1 vmcnt=31global read wait for DirectToVgpr

/*  grEndMfmaIndex:0, lwStartMfmaIndex:29, lwEndMfmaIndex:29  */
/*  numMfmaForLR:0, barrierMfmaIndex:31, LocalWritePerMfma:0.165 */
/*  mfmaIndex:0  */
_ds_load_b32 v[vgprValuA_X1_I0+0], v[vgprLocalReadAddrA] offset:128 // L -> Reg lro=32 swapByteOffset=0 ti=16 vIdx=0 rIdx=0 oIdx=0 buffer=1 iui=0
/* localReadsVacancy: latencyLeft 3 */
s_waitcnt lgkmcnt(1)                               // lgkmcnt=0 vmcnt=-1wait for prior local read local write old=0, new=1 newLW=0 newLR=1
v_mfma_f32_16x16x1_4b_f32 a[0+0:15+0], v[vgprValuA_X0_I0+0+0+0], v[vgprG2LB+0+0], a[0:15]
/* numPrefetchIter=0 */
/* dataAtIterA=-1 numReadsIterA=1 skipReadsIterA=1 readsPerIterA=1 */
/* dataAtIterB=-1 numReadsIterB=1 skipReadsIterB=1 readsPerIterB=1 */


/* iter 1 (last unrolled loop) */

s_waitcnt vmcnt(30)                                // lgkmcnt=-1 vmcnt=30global read wait for DirectToVgpr

/*  grEndMfmaIndex:0, lwStartMfmaIndex:29, lwEndMfmaIndex:29  */
/*  numMfmaForLR:0, barrierMfmaIndex:31, LocalWritePerMfma:0.165 */
/*  mfmaIndex:1  */
_ds_load_b32 v[vgprValuA_X0_I0+0], v[vgprLocalReadAddrA] offset:256 // L -> Reg lro=64 swapByteOffset=0 ti=16 vIdx=0 rIdx=0 oIdx=0 buffer=0 iui=0
/* localReadsVacancy: latencyLeft 3 */
s_waitcnt lgkmcnt(1)                               // lgkmcnt=0 vmcnt=-1wait for prior local read local write old=0, new=1 newLW=0 newLR=1
v_mfma_f32_16x16x1_4b_f32 a[0+0:15+0], v[vgprValuA_X1_I0+0+0+0], v[vgprG2LB+1+0], a[0:15]
/* numPrefetchIter=0 */
/* dataAtIterA=0 numReadsIterA=2 skipReadsIterA=1 readsPerIterA=1 */
/* dataAtIterB=0 numReadsIterB=2 skipReadsIterB=1 readsPerIterB=1 */


/* iter 2 (last unrolled loop) */

s_waitcnt vmcnt(29)                                // lgkmcnt=-1 vmcnt=29global read wait for DirectToVgpr

/*  grEndMfmaIndex:0, lwStartMfmaIndex:29, lwEndMfmaIndex:29  */
/*  numMfmaForLR:0, barrierMfmaIndex:31, LocalWritePerMfma:0.165 */
/*  mfmaIndex:2  */
_ds_load_b32 v[vgprValuA_X1_I0+0], v[vgprLocalReadAddrA] offset:384 // L -> Reg lro=96 swapByteOffset=0 ti=16 vIdx=0 rIdx=0 oIdx=0 buffer=1 iui=0
/* localReadsVacancy: latencyLeft 3 */
s_waitcnt lgkmcnt(1)                               // lgkmcnt=0 vmcnt=-1wait for prior local read local write old=0, new=1 newLW=0 newLR=1
v_mfma_f32_16x16x1_4b_f32 a[0+0:15+0], v[vgprValuA_X0_I0+0+0+0], v[vgprG2LB+2+0], a[0:15]
/* numPrefetchIter=0 */
/* dataAtIterA=1 numReadsIterA=3 skipReadsIterA=1 readsPerIterA=1 */
/* dataAtIterB=1 numReadsIterB=3 skipReadsIterB=1 readsPerIterB=1 */


/* iter 3 (last unrolled loop) */

s_waitcnt vmcnt(28)                                // lgkmcnt=-1 vmcnt=28global read wait for DirectToVgpr

/*  grEndMfmaIndex:0, lwStartMfmaIndex:29, lwEndMfmaIndex:29  */
/*  numMfmaForLR:0, barrierMfmaIndex:31, LocalWritePerMfma:0.165 */
/*  mfmaIndex:3  */
_ds_load_b32 v[vgprValuA_X0_I0+0], v[vgprLocalReadAddrA] offset:512 // L -> Reg lro=128 swapByteOffset=0 ti=16 vIdx=0 rIdx=0 oIdx=0 buffer=0 iui=0
/* localReadsVacancy: latencyLeft 3 */
s_waitcnt lgkmcnt(1)                               // lgkmcnt=0 vmcnt=-1wait for prior local read local write old=0, new=1 newLW=0 newLR=1
v_mfma_f32_16x16x1_4b_f32 a[0+0:15+0], v[vgprValuA_X1_I0+0+0+0], v[vgprG2LB+3+0], a[0:15]
/* numPrefetchIter=0 */
/* dataAtIterA=2 numReadsIterA=4 skipReadsIterA=1 readsPerIterA=1 */
/* dataAtIterB=2 numReadsIterB=4 skipReadsIterB=1 readsPerIterB=1 */


/* iter 4 (last unrolled loop) */

s_waitcnt vmcnt(27)                                // lgkmcnt=-1 vmcnt=27global read wait for DirectToVgpr

/*  grEndMfmaIndex:0, lwStartMfmaIndex:29, lwEndMfmaIndex:29  */
/*  numMfmaForLR:0, barrierMfmaIndex:31, LocalWritePerMfma:0.165 */
/*  mfmaIndex:4  */
_ds_load_b32 v[vgprValuA_X1_I0+0], v[vgprLocalReadAddrA] offset:640 // L -> Reg lro=160 swapByteOffset=0 ti=16 vIdx=0 rIdx=0 oIdx=0 buffer=1 iui=0
/* localReadsVacancy: latencyLeft 3 */
s_waitcnt lgkmcnt(1)                               // lgkmcnt=0 vmcnt=-1wait for prior local read local write old=0, new=1 newLW=0 newLR=1
v_mfma_f32_16x16x1_4b_f32 a[0+0:15+0], v[vgprValuA_X0_I0+0+0+0], v[vgprG2LB+4+0], a[0:15]
/* numPrefetchIter=0 */
/* dataAtIterA=3 numReadsIterA=5 skipReadsIterA=1 readsPerIterA=1 */
/* dataAtIterB=3 numReadsIterB=5 skipReadsIterB=1 readsPerIterB=1 */


/* iter 5 (last unrolled loop) */

s_waitcnt vmcnt(26)                                // lgkmcnt=-1 vmcnt=26global read wait for DirectToVgpr

/*  grEndMfmaIndex:0, lwStartMfmaIndex:29, lwEndMfmaIndex:29  */
/*  numMfmaForLR:0, barrierMfmaIndex:31, LocalWritePerMfma:0.165 */
/*  mfmaIndex:5  */
_ds_load_b32 v[vgprValuA_X0_I0+0], v[vgprLocalReadAddrA] offset:768 // L -> Reg lro=192 swapByteOffset=0 ti=16 vIdx=0 rIdx=0 oIdx=0 buffer=0 iui=0
/* localReadsVacancy: latencyLeft 3 */
s_waitcnt lgkmcnt(1)                               // lgkmcnt=0 vmcnt=-1wait for prior local read local write old=0, new=1 newLW=0 newLR=1
v_mfma_f32_16x16x1_4b_f32 a[0+0:15+0], v[vgprValuA_X1_I0+0+0+0], v[vgprG2LB+5+0], a[0:15]
/* numPrefetchIter=0 */
/* dataAtIterA=4 numReadsIterA=6 skipReadsIterA=1 readsPerIterA=1 */
/* dataAtIterB=4 numReadsIterB=6 skipReadsIterB=1 readsPerIterB=1 */


/* iter 6 (last unrolled loop) */

s_waitcnt vmcnt(25)                                // lgkmcnt=-1 vmcnt=25global read wait for DirectToVgpr

/*  grEndMfmaIndex:0, lwStartMfmaIndex:29, lwEndMfmaIndex:29  */
/*  numMfmaForLR:0, barrierMfmaIndex:31, LocalWritePerMfma:0.165 */
/*  mfmaIndex:6  */
_ds_load_b32 v[vgprValuA_X1_I0+0], v[vgprLocalReadAddrA] offset:896 // L -> Reg lro=224 swapByteOffset=0 ti=16 vIdx=0 rIdx=0 oIdx=0 buffer=1 iui=0
/* localReadsVacancy: latencyLeft 3 */
s_waitcnt lgkmcnt(1)                               // lgkmcnt=0 vmcnt=-1wait for prior local read local write old=0, new=1 newLW=0 newLR=1
v_mfma_f32_16x16x1_4b_f32 a[0+0:15+0], v[vgprValuA_X0_I0+0+0+0], v[vgprG2LB+6+0], a[0:15]
/* numPrefetchIter=0 */
/* dataAtIterA=5 numReadsIterA=7 skipReadsIterA=1 readsPerIterA=1 */
/* dataAtIterB=5 numReadsIterB=7 skipReadsIterB=1 readsPerIterB=1 */


/* iter 7 (last unrolled loop) */

s_waitcnt vmcnt(24)                                // lgkmcnt=-1 vmcnt=24global read wait for DirectToVgpr

/*  grEndMfmaIndex:0, lwStartMfmaIndex:29, lwEndMfmaIndex:29  */
/*  numMfmaForLR:0, barrierMfmaIndex:31, LocalWritePerMfma:0.165 */
/*  mfmaIndex:7  */
_ds_load_b32 v[vgprValuA_X0_I0+0], v[vgprLocalReadAddrA] offset:1024 // L -> Reg lro=256 swapByteOffset=0 ti=16 vIdx=0 rIdx=0 oIdx=0 buffer=0 iui=0
/* localReadsVacancy: latencyLeft 3 */
s_waitcnt lgkmcnt(1)                               // lgkmcnt=0 vmcnt=-1wait for prior local read local write old=0, new=1 newLW=0 newLR=1
v_mfma_f32_16x16x1_4b_f32 a[0+0:15+0], v[vgprValuA_X1_I0+0+0+0], v[vgprG2LB+7+0], a[0:15]
/* numPrefetchIter=0 */
/* dataAtIterA=6 numReadsIterA=8 skipReadsIterA=1 readsPerIterA=1 */
/* dataAtIterB=6 numReadsIterB=8 skipReadsIterB=1 readsPerIterB=1 */


/* iter 8 (last unrolled loop) */

s_waitcnt vmcnt(23)                                // lgkmcnt=-1 vmcnt=23global read wait for DirectToVgpr

/*  grEndMfmaIndex:0, lwStartMfmaIndex:29, lwEndMfmaIndex:29  */
/*  numMfmaForLR:0, barrierMfmaIndex:31, LocalWritePerMfma:0.165 */
/*  mfmaIndex:8  */
_ds_load_b32 v[vgprValuA_X1_I0+0], v[vgprLocalReadAddrA] offset:1152 // L -> Reg lro=288 swapByteOffset=0 ti=16 vIdx=0 rIdx=0 oIdx=0 buffer=1 iui=0
/* localReadsVacancy: latencyLeft 3 */
s_waitcnt lgkmcnt(1)                               // lgkmcnt=0 vmcnt=-1wait for prior local read local write old=0, new=1 newLW=0 newLR=1
v_mfma_f32_16x16x1_4b_f32 a[0+0:15+0], v[vgprValuA_X0_I0+0+0+0], v[vgprG2LB+8+0], a[0:15]
/* numPrefetchIter=0 */
/* dataAtIterA=7 numReadsIterA=9 skipReadsIterA=1 readsPerIterA=1 */
/* dataAtIterB=7 numReadsIterB=9 skipReadsIterB=1 readsPerIterB=1 */


/* iter 9 (last unrolled loop) */

s_waitcnt vmcnt(22)                                // lgkmcnt=-1 vmcnt=22global read wait for DirectToVgpr

/*  grEndMfmaIndex:0, lwStartMfmaIndex:29, lwEndMfmaIndex:29  */
/*  numMfmaForLR:0, barrierMfmaIndex:31, LocalWritePerMfma:0.165 */
/*  mfmaIndex:9  */
_ds_load_b32 v[vgprValuA_X0_I0+0], v[vgprLocalReadAddrA] offset:1280 // L -> Reg lro=320 swapByteOffset=0 ti=16 vIdx=0 rIdx=0 oIdx=0 buffer=0 iui=0
/* localReadsVacancy: latencyLeft 3 */
s_waitcnt lgkmcnt(1)                               // lgkmcnt=0 vmcnt=-1wait for prior local read local write old=0, new=1 newLW=0 newLR=1
v_mfma_f32_16x16x1_4b_f32 a[0+0:15+0], v[vgprValuA_X1_I0+0+0+0], v[vgprG2LB+9+0], a[0:15]
/* numPrefetchIter=0 */
/* dataAtIterA=8 numReadsIterA=10 skipReadsIterA=1 readsPerIterA=1 */
/* dataAtIterB=8 numReadsIterB=10 skipReadsIterB=1 readsPerIterB=1 */


/* iter 10 (last unrolled loop) */

s_waitcnt vmcnt(21)                                // lgkmcnt=-1 vmcnt=21global read wait for DirectToVgpr

/*  grEndMfmaIndex:0, lwStartMfmaIndex:29, lwEndMfmaIndex:29  */
/*  numMfmaForLR:0, barrierMfmaIndex:31, LocalWritePerMfma:0.165 */
/*  mfmaIndex:10  */
_ds_load_b32 v[vgprValuA_X1_I0+0], v[vgprLocalReadAddrA] offset:1408 // L -> Reg lro=352 swapByteOffset=0 ti=16 vIdx=0 rIdx=0 oIdx=0 buffer=1 iui=0
/* localReadsVacancy: latencyLeft 3 */
s_waitcnt lgkmcnt(1)                               // lgkmcnt=0 vmcnt=-1wait for prior local read local write old=0, new=1 newLW=0 newLR=1
v_mfma_f32_16x16x1_4b_f32 a[0+0:15+0], v[vgprValuA_X0_I0+0+0+0], v[vgprG2LB+10+0], a[0:15]
/* numPrefetchIter=0 */
/* dataAtIterA=9 numReadsIterA=11 skipReadsIterA=1 readsPerIterA=1 */
/* dataAtIterB=9 numReadsIterB=11 skipReadsIterB=1 readsPerIterB=1 */


/* iter 11 (last unrolled loop) */

s_waitcnt vmcnt(20)                                // lgkmcnt=-1 vmcnt=20global read wait for DirectToVgpr

/*  grEndMfmaIndex:0, lwStartMfmaIndex:29, lwEndMfmaIndex:29  */
/*  numMfmaForLR:0, barrierMfmaIndex:31, LocalWritePerMfma:0.165 */
/*  mfmaIndex:11  */
_ds_load_b32 v[vgprValuA_X0_I0+0], v[vgprLocalReadAddrA] offset:1536 // L -> Reg lro=384 swapByteOffset=0 ti=16 vIdx=0 rIdx=0 oIdx=0 buffer=0 iui=0
/* localReadsVacancy: latencyLeft 3 */
s_waitcnt lgkmcnt(1)                               // lgkmcnt=0 vmcnt=-1wait for prior local read local write old=0, new=1 newLW=0 newLR=1
v_mfma_f32_16x16x1_4b_f32 a[0+0:15+0], v[vgprValuA_X1_I0+0+0+0], v[vgprG2LB+11+0], a[0:15]
/* numPrefetchIter=0 */
/* dataAtIterA=10 numReadsIterA=12 skipReadsIterA=1 readsPerIterA=1 */
/* dataAtIterB=10 numReadsIterB=12 skipReadsIterB=1 readsPerIterB=1 */


/* iter 12 (last unrolled loop) */

s_waitcnt vmcnt(19)                                // lgkmcnt=-1 vmcnt=19global read wait for DirectToVgpr

/*  grEndMfmaIndex:0, lwStartMfmaIndex:29, lwEndMfmaIndex:29  */
/*  numMfmaForLR:0, barrierMfmaIndex:31, LocalWritePerMfma:0.165 */
/*  mfmaIndex:12  */
_ds_load_b32 v[vgprValuA_X1_I0+0], v[vgprLocalReadAddrA] offset:1664 // L -> Reg lro=416 swapByteOffset=0 ti=16 vIdx=0 rIdx=0 oIdx=0 buffer=1 iui=0
/* localReadsVacancy: latencyLeft 3 */
s_waitcnt lgkmcnt(1)                               // lgkmcnt=0 vmcnt=-1wait for prior local read local write old=0, new=1 newLW=0 newLR=1
v_mfma_f32_16x16x1_4b_f32 a[0+0:15+0], v[vgprValuA_X0_I0+0+0+0], v[vgprG2LB+12+0], a[0:15]
/* numPrefetchIter=0 */
/* dataAtIterA=11 numReadsIterA=13 skipReadsIterA=1 readsPerIterA=1 */
/* dataAtIterB=11 numReadsIterB=13 skipReadsIterB=1 readsPerIterB=1 */


/* iter 13 (last unrolled loop) */

s_waitcnt vmcnt(18)                                // lgkmcnt=-1 vmcnt=18global read wait for DirectToVgpr

/*  grEndMfmaIndex:0, lwStartMfmaIndex:29, lwEndMfmaIndex:29  */
/*  numMfmaForLR:0, barrierMfmaIndex:31, LocalWritePerMfma:0.165 */
/*  mfmaIndex:13  */
_ds_load_b32 v[vgprValuA_X0_I0+0], v[vgprLocalReadAddrA] offset:1792 // L -> Reg lro=448 swapByteOffset=0 ti=16 vIdx=0 rIdx=0 oIdx=0 buffer=0 iui=0
/* localReadsVacancy: latencyLeft 3 */
s_waitcnt lgkmcnt(1)                               // lgkmcnt=0 vmcnt=-1wait for prior local read local write old=0, new=1 newLW=0 newLR=1
v_mfma_f32_16x16x1_4b_f32 a[0+0:15+0], v[vgprValuA_X1_I0+0+0+0], v[vgprG2LB+13+0], a[0:15]
/* numPrefetchIter=0 */
/* dataAtIterA=12 numReadsIterA=14 skipReadsIterA=1 readsPerIterA=1 */
/* dataAtIterB=12 numReadsIterB=14 skipReadsIterB=1 readsPerIterB=1 */


/* iter 14 (last unrolled loop) */

s_waitcnt vmcnt(17)                                // lgkmcnt=-1 vmcnt=17global read wait for DirectToVgpr

/*  grEndMfmaIndex:0, lwStartMfmaIndex:29, lwEndMfmaIndex:29  */
/*  numMfmaForLR:0, barrierMfmaIndex:31, LocalWritePerMfma:0.165 */
/*  mfmaIndex:14  */
_ds_load_b32 v[vgprValuA_X1_I0+0], v[vgprLocalReadAddrA] offset:1920 // L -> Reg lro=480 swapByteOffset=0 ti=16 vIdx=0 rIdx=0 oIdx=0 buffer=1 iui=0
/* localReadsVacancy: latencyLeft 3 */
s_waitcnt lgkmcnt(1)                               // lgkmcnt=0 vmcnt=-1wait for prior local read local write old=0, new=1 newLW=0 newLR=1
v_mfma_f32_16x16x1_4b_f32 a[0+0:15+0], v[vgprValuA_X0_I0+0+0+0], v[vgprG2LB+14+0], a[0:15]
/* numPrefetchIter=0 */
/* dataAtIterA=13 numReadsIterA=15 skipReadsIterA=1 readsPerIterA=1 */
/* dataAtIterB=13 numReadsIterB=15 skipReadsIterB=1 readsPerIterB=1 */


/* iter 15 (last unrolled loop) */

s_waitcnt vmcnt(16)                                // lgkmcnt=-1 vmcnt=16global read wait for DirectToVgpr

/*  grEndMfmaIndex:0, lwStartMfmaIndex:29, lwEndMfmaIndex:29  */
/*  numMfmaForLR:0, barrierMfmaIndex:31, LocalWritePerMfma:0.165 */
/*  mfmaIndex:15  */
_ds_load_b32 v[vgprValuA_X0_I0+0], v[vgprLocalReadAddrA] offset:2048 // L -> Reg lro=512 swapByteOffset=0 ti=16 vIdx=0 rIdx=0 oIdx=0 buffer=0 iui=0
/* localReadsVacancy: latencyLeft 3 */
s_waitcnt lgkmcnt(1)                               // lgkmcnt=0 vmcnt=-1wait for prior local read local write old=0, new=1 newLW=0 newLR=1
v_mfma_f32_16x16x1_4b_f32 a[0+0:15+0], v[vgprValuA_X1_I0+0+0+0], v[vgprG2LB+15+0], a[0:15]
/* numPrefetchIter=0 */
/* dataAtIterA=14 numReadsIterA=16 skipReadsIterA=1 readsPerIterA=1 */
/* dataAtIterB=14 numReadsIterB=16 skipReadsIterB=1 readsPerIterB=1 */


/* iter 16 (last unrolled loop) */

s_waitcnt vmcnt(15)                                // lgkmcnt=-1 vmcnt=15global read wait for DirectToVgpr

/*  grEndMfmaIndex:0, lwStartMfmaIndex:29, lwEndMfmaIndex:29  */
/*  numMfmaForLR:0, barrierMfmaIndex:31, LocalWritePerMfma:0.165 */
/*  mfmaIndex:16  */
_ds_load_b32 v[vgprValuA_X1_I0+0], v[vgprLocalReadAddrA] offset:2176 // L -> Reg lro=544 swapByteOffset=0 ti=16 vIdx=0 rIdx=0 oIdx=0 buffer=1 iui=0
/* localReadsVacancy: latencyLeft 3 */
s_waitcnt lgkmcnt(1)                               // lgkmcnt=0 vmcnt=-1wait for prior local read local write old=0, new=1 newLW=0 newLR=1
v_mfma_f32_16x16x1_4b_f32 a[0+0:15+0], v[vgprValuA_X0_I0+0+0+0], v[vgprG2LB+16+0], a[0:15]
/* numPrefetchIter=0 */
/* dataAtIterA=15 numReadsIterA=17 skipReadsIterA=1 readsPerIterA=1 */
/* dataAtIterB=15 numReadsIterB=17 skipReadsIterB=1 readsPerIterB=1 */


/* iter 17 (last unrolled loop) */

s_waitcnt vmcnt(14)                                // lgkmcnt=-1 vmcnt=14global read wait for DirectToVgpr

/*  grEndMfmaIndex:0, lwStartMfmaIndex:29, lwEndMfmaIndex:29  */
/*  numMfmaForLR:0, barrierMfmaIndex:31, LocalWritePerMfma:0.165 */
/*  mfmaIndex:17  */
_ds_load_b32 v[vgprValuA_X0_I0+0], v[vgprLocalReadAddrA] offset:2304 // L -> Reg lro=576 swapByteOffset=0 ti=16 vIdx=0 rIdx=0 oIdx=0 buffer=0 iui=0
/* localReadsVacancy: latencyLeft 3 */
s_waitcnt lgkmcnt(1)                               // lgkmcnt=0 vmcnt=-1wait for prior local read local write old=0, new=1 newLW=0 newLR=1
v_mfma_f32_16x16x1_4b_f32 a[0+0:15+0], v[vgprValuA_X1_I0+0+0+0], v[vgprG2LB+17+0], a[0:15]
/* numPrefetchIter=0 */
/* dataAtIterA=16 numReadsIterA=18 skipReadsIterA=1 readsPerIterA=1 */
/* dataAtIterB=16 numReadsIterB=18 skipReadsIterB=1 readsPerIterB=1 */


/* iter 18 (last unrolled loop) */

s_waitcnt vmcnt(13)                                // lgkmcnt=-1 vmcnt=13global read wait for DirectToVgpr

/*  grEndMfmaIndex:0, lwStartMfmaIndex:29, lwEndMfmaIndex:29  */
/*  numMfmaForLR:0, barrierMfmaIndex:31, LocalWritePerMfma:0.165 */
/*  mfmaIndex:18  */
_ds_load_b32 v[vgprValuA_X1_I0+0], v[vgprLocalReadAddrA] offset:2432 // L -> Reg lro=608 swapByteOffset=0 ti=16 vIdx=0 rIdx=0 oIdx=0 buffer=1 iui=0
/* localReadsVacancy: latencyLeft 3 */
s_waitcnt lgkmcnt(1)                               // lgkmcnt=0 vmcnt=-1wait for prior local read local write old=0, new=1 newLW=0 newLR=1
v_mfma_f32_16x16x1_4b_f32 a[0+0:15+0], v[vgprValuA_X0_I0+0+0+0], v[vgprG2LB+18+0], a[0:15]
/* numPrefetchIter=0 */
/* dataAtIterA=17 numReadsIterA=19 skipReadsIterA=1 readsPerIterA=1 */
/* dataAtIterB=17 numReadsIterB=19 skipReadsIterB=1 readsPerIterB=1 */


/* iter 19 (last unrolled loop) */

s_waitcnt vmcnt(12)                                // lgkmcnt=-1 vmcnt=12global read wait for DirectToVgpr

/*  grEndMfmaIndex:0, lwStartMfmaIndex:29, lwEndMfmaIndex:29  */
/*  numMfmaForLR:0, barrierMfmaIndex:31, LocalWritePerMfma:0.165 */
/*  mfmaIndex:19  */
_ds_load_b32 v[vgprValuA_X0_I0+0], v[vgprLocalReadAddrA] offset:2560 // L -> Reg lro=640 swapByteOffset=0 ti=16 vIdx=0 rIdx=0 oIdx=0 buffer=0 iui=0
/* localReadsVacancy: latencyLeft 3 */
s_waitcnt lgkmcnt(1)                               // lgkmcnt=0 vmcnt=-1wait for prior local read local write old=0, new=1 newLW=0 newLR=1
v_mfma_f32_16x16x1_4b_f32 a[0+0:15+0], v[vgprValuA_X1_I0+0+0+0], v[vgprG2LB+19+0], a[0:15]
/* numPrefetchIter=0 */
/* dataAtIterA=18 numReadsIterA=20 skipReadsIterA=1 readsPerIterA=1 */
/* dataAtIterB=18 numReadsIterB=20 skipReadsIterB=1 readsPerIterB=1 */


/* iter 20 (last unrolled loop) */

s_waitcnt vmcnt(11)                                // lgkmcnt=-1 vmcnt=11global read wait for DirectToVgpr

/*  grEndMfmaIndex:0, lwStartMfmaIndex:29, lwEndMfmaIndex:29  */
/*  numMfmaForLR:0, barrierMfmaIndex:31, LocalWritePerMfma:0.165 */
/*  mfmaIndex:20  */
_ds_load_b32 v[vgprValuA_X1_I0+0], v[vgprLocalReadAddrA] offset:2688 // L -> Reg lro=672 swapByteOffset=0 ti=16 vIdx=0 rIdx=0 oIdx=0 buffer=1 iui=0
/* localReadsVacancy: latencyLeft 3 */
s_waitcnt lgkmcnt(1)                               // lgkmcnt=0 vmcnt=-1wait for prior local read local write old=0, new=1 newLW=0 newLR=1
v_mfma_f32_16x16x1_4b_f32 a[0+0:15+0], v[vgprValuA_X0_I0+0+0+0], v[vgprG2LB+20+0], a[0:15]
/* numPrefetchIter=0 */
/* dataAtIterA=19 numReadsIterA=21 skipReadsIterA=1 readsPerIterA=1 */
/* dataAtIterB=19 numReadsIterB=21 skipReadsIterB=1 readsPerIterB=1 */


/* iter 21 (last unrolled loop) */

s_waitcnt vmcnt(10)                                // lgkmcnt=-1 vmcnt=10global read wait for DirectToVgpr

/*  grEndMfmaIndex:0, lwStartMfmaIndex:29, lwEndMfmaIndex:29  */
/*  numMfmaForLR:0, barrierMfmaIndex:31, LocalWritePerMfma:0.165 */
/*  mfmaIndex:21  */
_ds_load_b32 v[vgprValuA_X0_I0+0], v[vgprLocalReadAddrA] offset:2816 // L -> Reg lro=704 swapByteOffset=0 ti=16 vIdx=0 rIdx=0 oIdx=0 buffer=0 iui=0
/* localReadsVacancy: latencyLeft 3 */
s_waitcnt lgkmcnt(1)                               // lgkmcnt=0 vmcnt=-1wait for prior local read local write old=0, new=1 newLW=0 newLR=1
v_mfma_f32_16x16x1_4b_f32 a[0+0:15+0], v[vgprValuA_X1_I0+0+0+0], v[vgprG2LB+21+0], a[0:15]
/* numPrefetchIter=0 */
/* dataAtIterA=20 numReadsIterA=22 skipReadsIterA=1 readsPerIterA=1 */
/* dataAtIterB=20 numReadsIterB=22 skipReadsIterB=1 readsPerIterB=1 */


/* iter 22 (last unrolled loop) */

s_waitcnt vmcnt(9)                                 // lgkmcnt=-1 vmcnt=9global read wait for DirectToVgpr

/*  grEndMfmaIndex:0, lwStartMfmaIndex:29, lwEndMfmaIndex:29  */
/*  numMfmaForLR:0, barrierMfmaIndex:31, LocalWritePerMfma:0.165 */
/*  mfmaIndex:22  */
_ds_load_b32 v[vgprValuA_X1_I0+0], v[vgprLocalReadAddrA] offset:2944 // L -> Reg lro=736 swapByteOffset=0 ti=16 vIdx=0 rIdx=0 oIdx=0 buffer=1 iui=0
/* localReadsVacancy: latencyLeft 3 */
s_waitcnt lgkmcnt(1)                               // lgkmcnt=0 vmcnt=-1wait for prior local read local write old=0, new=1 newLW=0 newLR=1
v_mfma_f32_16x16x1_4b_f32 a[0+0:15+0], v[vgprValuA_X0_I0+0+0+0], v[vgprG2LB+22+0], a[0:15]
/* numPrefetchIter=0 */
/* dataAtIterA=21 numReadsIterA=23 skipReadsIterA=1 readsPerIterA=1 */
/* dataAtIterB=21 numReadsIterB=23 skipReadsIterB=1 readsPerIterB=1 */


/* iter 23 (last unrolled loop) */

s_waitcnt vmcnt(8)                                 // lgkmcnt=-1 vmcnt=8global read wait for DirectToVgpr

/*  grEndMfmaIndex:0, lwStartMfmaIndex:29, lwEndMfmaIndex:29  */
/*  numMfmaForLR:0, barrierMfmaIndex:31, LocalWritePerMfma:0.165 */
/*  mfmaIndex:23  */
_ds_load_b32 v[vgprValuA_X0_I0+0], v[vgprLocalReadAddrA] offset:3072 // L -> Reg lro=768 swapByteOffset=0 ti=16 vIdx=0 rIdx=0 oIdx=0 buffer=0 iui=0
/* localReadsVacancy: latencyLeft 3 */
s_waitcnt lgkmcnt(1)                               // lgkmcnt=0 vmcnt=-1wait for prior local read local write old=0, new=1 newLW=0 newLR=1
v_mfma_f32_16x16x1_4b_f32 a[0+0:15+0], v[vgprValuA_X1_I0+0+0+0], v[vgprG2LB+23+0], a[0:15]
/* numPrefetchIter=0 */
/* dataAtIterA=22 numReadsIterA=24 skipReadsIterA=1 readsPerIterA=1 */
/* dataAtIterB=22 numReadsIterB=24 skipReadsIterB=1 readsPerIterB=1 */


/* iter 24 (last unrolled loop) */

s_waitcnt vmcnt(7)                                 // lgkmcnt=-1 vmcnt=7global read wait for DirectToVgpr

/*  grEndMfmaIndex:0, lwStartMfmaIndex:29, lwEndMfmaIndex:29  */
/*  numMfmaForLR:0, barrierMfmaIndex:31, LocalWritePerMfma:0.165 */
/*  mfmaIndex:24  */
_ds_load_b32 v[vgprValuA_X1_I0+0], v[vgprLocalReadAddrA] offset:3200 // L -> Reg lro=800 swapByteOffset=0 ti=16 vIdx=0 rIdx=0 oIdx=0 buffer=1 iui=0
/* localReadsVacancy: latencyLeft 3 */
s_waitcnt lgkmcnt(1)                               // lgkmcnt=0 vmcnt=-1wait for prior local read local write old=0, new=1 newLW=0 newLR=1
v_mfma_f32_16x16x1_4b_f32 a[0+0:15+0], v[vgprValuA_X0_I0+0+0+0], v[vgprG2LB+24+0], a[0:15]
/* numPrefetchIter=0 */
/* dataAtIterA=23 numReadsIterA=25 skipReadsIterA=1 readsPerIterA=1 */
/* dataAtIterB=23 numReadsIterB=25 skipReadsIterB=1 readsPerIterB=1 */


/* iter 25 (last unrolled loop) */

s_waitcnt vmcnt(6)                                 // lgkmcnt=-1 vmcnt=6global read wait for DirectToVgpr

/*  grEndMfmaIndex:0, lwStartMfmaIndex:29, lwEndMfmaIndex:29  */
/*  numMfmaForLR:0, barrierMfmaIndex:31, LocalWritePerMfma:0.165 */
/*  mfmaIndex:25  */
_ds_load_b32 v[vgprValuA_X0_I0+0], v[vgprLocalReadAddrA] offset:3328 // L -> Reg lro=832 swapByteOffset=0 ti=16 vIdx=0 rIdx=0 oIdx=0 buffer=0 iui=0
/* localReadsVacancy: latencyLeft 3 */
s_waitcnt lgkmcnt(1)                               // lgkmcnt=0 vmcnt=-1wait for prior local read local write old=0, new=1 newLW=0 newLR=1
v_mfma_f32_16x16x1_4b_f32 a[0+0:15+0], v[vgprValuA_X1_I0+0+0+0], v[vgprG2LB+25+0], a[0:15]
/* numPrefetchIter=0 */
/* dataAtIterA=24 numReadsIterA=26 skipReadsIterA=1 readsPerIterA=1 */
/* dataAtIterB=24 numReadsIterB=26 skipReadsIterB=1 readsPerIterB=1 */


/* iter 26 (last unrolled loop) */

s_waitcnt vmcnt(5)                                 // lgkmcnt=-1 vmcnt=5global read wait for DirectToVgpr

/*  grEndMfmaIndex:0, lwStartMfmaIndex:29, lwEndMfmaIndex:29  */
/*  numMfmaForLR:0, barrierMfmaIndex:31, LocalWritePerMfma:0.165 */
/*  mfmaIndex:26  */
_ds_load_b32 v[vgprValuA_X1_I0+0], v[vgprLocalReadAddrA] offset:3456 // L -> Reg lro=864 swapByteOffset=0 ti=16 vIdx=0 rIdx=0 oIdx=0 buffer=1 iui=0
/* localReadsVacancy: latencyLeft 3 */
s_waitcnt lgkmcnt(1)                               // lgkmcnt=0 vmcnt=-1wait for prior local read local write old=0, new=1 newLW=0 newLR=1
v_mfma_f32_16x16x1_4b_f32 a[0+0:15+0], v[vgprValuA_X0_I0+0+0+0], v[vgprG2LB+26+0], a[0:15]
/* numPrefetchIter=0 */
/* dataAtIterA=25 numReadsIterA=27 skipReadsIterA=1 readsPerIterA=1 */
/* dataAtIterB=25 numReadsIterB=27 skipReadsIterB=1 readsPerIterB=1 */


/* iter 27 (last unrolled loop) */

s_waitcnt vmcnt(4)                                 // lgkmcnt=-1 vmcnt=4global read wait for DirectToVgpr

/*  grEndMfmaIndex:0, lwStartMfmaIndex:29, lwEndMfmaIndex:29  */
/*  numMfmaForLR:0, barrierMfmaIndex:31, LocalWritePerMfma:0.165 */
/*  mfmaIndex:27  */
_ds_load_b32 v[vgprValuA_X0_I0+0], v[vgprLocalReadAddrA] offset:3584 // L -> Reg lro=896 swapByteOffset=0 ti=16 vIdx=0 rIdx=0 oIdx=0 buffer=0 iui=0
/* localReadsVacancy: latencyLeft 3 */
s_waitcnt lgkmcnt(1)                               // lgkmcnt=0 vmcnt=-1wait for prior local read local write old=0, new=1 newLW=0 newLR=1
v_mfma_f32_16x16x1_4b_f32 a[0+0:15+0], v[vgprValuA_X1_I0+0+0+0], v[vgprG2LB+27+0], a[0:15]
/* numPrefetchIter=0 */
/* dataAtIterA=26 numReadsIterA=28 skipReadsIterA=1 readsPerIterA=1 */
/* dataAtIterB=26 numReadsIterB=28 skipReadsIterB=1 readsPerIterB=1 */


/* iter 28 (last unrolled loop) */

s_waitcnt vmcnt(3)                                 // lgkmcnt=-1 vmcnt=3global read wait for DirectToVgpr

/*  grEndMfmaIndex:0, lwStartMfmaIndex:29, lwEndMfmaIndex:29  */
/*  numMfmaForLR:0, barrierMfmaIndex:31, LocalWritePerMfma:0.165 */
/*  mfmaIndex:28  */
_ds_load_b32 v[vgprValuA_X1_I0+0], v[vgprLocalReadAddrA] offset:3712 // L -> Reg lro=928 swapByteOffset=0 ti=16 vIdx=0 rIdx=0 oIdx=0 buffer=1 iui=0
/* localReadsVacancy: latencyLeft 3 */
s_waitcnt lgkmcnt(1)                               // lgkmcnt=0 vmcnt=-1wait for prior local read local write old=0, new=1 newLW=0 newLR=1
v_mfma_f32_16x16x1_4b_f32 a[0+0:15+0], v[vgprValuA_X0_I0+0+0+0], v[vgprG2LB+28+0], a[0:15]
/* numPrefetchIter=0 */
/* dataAtIterA=27 numReadsIterA=29 skipReadsIterA=1 readsPerIterA=1 */
/* dataAtIterB=27 numReadsIterB=29 skipReadsIterB=1 readsPerIterB=1 */


/* iter 29 (last unrolled loop) */

s_waitcnt vmcnt(2)                                 // lgkmcnt=-1 vmcnt=2global read wait for DirectToVgpr

/*  grEndMfmaIndex:0, lwStartMfmaIndex:29, lwEndMfmaIndex:29  */
/*  numMfmaForLR:0, barrierMfmaIndex:31, LocalWritePerMfma:0.165 */
/*  mfmaIndex:29  */
_ds_load_b32 v[vgprValuA_X0_I0+0], v[vgprLocalReadAddrA] offset:3840 // L -> Reg lro=960 swapByteOffset=0 ti=16 vIdx=0 rIdx=0 oIdx=0 buffer=0 iui=0
/* localReadsVacancy: latencyLeft 3 */
s_waitcnt lgkmcnt(1)                               // lgkmcnt=0 vmcnt=-1wait for prior local read local write old=0, new=1 newLW=0 newLR=1
v_mfma_f32_16x16x1_4b_f32 a[0+0:15+0], v[vgprValuA_X1_I0+0+0+0], v[vgprG2LB+29+0], a[0:15]
/* numPrefetchIter=0 */
/* dataAtIterA=28 numReadsIterA=30 skipReadsIterA=1 readsPerIterA=1 */
/* dataAtIterB=28 numReadsIterB=30 skipReadsIterB=1 readsPerIterB=1 */


/* iter 30 (last unrolled loop) */

s_waitcnt vmcnt(1)                                 // lgkmcnt=-1 vmcnt=1global read wait for DirectToVgpr

/*  grEndMfmaIndex:0, lwStartMfmaIndex:29, lwEndMfmaIndex:29  */
/*  numMfmaForLR:0, barrierMfmaIndex:31, LocalWritePerMfma:0.165 */
/*  mfmaIndex:30  */
_ds_load_b32 v[vgprValuA_X1_I0+0], v[vgprLocalReadAddrA] offset:3968 // L -> Reg lro=992 swapByteOffset=0 ti=16 vIdx=0 rIdx=0 oIdx=0 buffer=1 iui=0
/* localReadsVacancy: latencyLeft 3 */
s_waitcnt lgkmcnt(1)                               // lgkmcnt=0 vmcnt=-1wait for prior local read local write old=0, new=1 newLW=0 newLR=1
v_mfma_f32_16x16x1_4b_f32 a[0+0:15+0], v[vgprValuA_X0_I0+0+0+0], v[vgprG2LB+30+0], a[0:15]
/* numPrefetchIter=0 */
/* dataAtIterA=29 numReadsIterA=31 skipReadsIterA=1 readsPerIterA=1 */
/* dataAtIterB=29 numReadsIterB=31 skipReadsIterB=1 readsPerIterB=1 */


/* iter 31 (last unrolled loop) */

s_waitcnt vmcnt(0)                                 // lgkmcnt=-1 vmcnt=0global read wait for DirectToVgpr

/*  grEndMfmaIndex:0, lwStartMfmaIndex:29, lwEndMfmaIndex:29  */
/*  numMfmaForLR:0, barrierMfmaIndex:31, LocalWritePerMfma:0.165 */
/*  mfmaIndex:31  */
s_waitcnt lgkmcnt(0)                               // lgkmcnt=0 vmcnt=-1wait for prior local read local write old=0, new=0 newLW=0 newLR=0
v_mfma_f32_16x16x1_4b_f32 a[0+0:15+0], v[vgprValuA_X1_I0+0+0+0], v[vgprG2LB+31+0], a[0:15]
/* numPrefetchIter=0 */
/* dataAtIterA=30 numReadsIterA=31 skipReadsIterA=0 readsPerIterA=1 */
/* dataAtIterB=30 numReadsIterB=31 skipReadsIterB=0 readsPerIterB=1 */

s_branch label_0033                                // Skip even code
label_0032: // EvenStartNoLoadLoopOrd 


	;; [unrolled: 1-line block ×3, first 2 shown]
/* iter 0 (last unrolled loop) */

s_waitcnt vmcnt(31)                                // lgkmcnt=-1 vmcnt=31global read wait for DirectToVgpr

/*  grEndMfmaIndex:0, lwStartMfmaIndex:29, lwEndMfmaIndex:29  */
/*  numMfmaForLR:0, barrierMfmaIndex:31, LocalWritePerMfma:0.165 */
/*  mfmaIndex:0  */
_ds_load_b32 v[vgprValuA_X1_I0+0], v[vgprLocalReadAddrA] offset:128 // L -> Reg lro=32 swapByteOffset=0 ti=16 vIdx=0 rIdx=0 oIdx=0 buffer=1 iui=0
/* localReadsVacancy: latencyLeft 3 */
s_waitcnt lgkmcnt(1)                               // lgkmcnt=0 vmcnt=-1wait for prior local read local write old=0, new=1 newLW=0 newLR=1
v_mfma_f32_16x16x1_4b_f32 a[0+0:15+0], v[vgprValuA_X0_I0+0+0+0], v[vgprG2LB+32+0], a[0:15]
/* numPrefetchIter=0 */
/* dataAtIterA=-1 numReadsIterA=1 skipReadsIterA=1 readsPerIterA=1 */
/* dataAtIterB=-1 numReadsIterB=1 skipReadsIterB=1 readsPerIterB=1 */


/* iter 1 (last unrolled loop) */

s_waitcnt vmcnt(30)                                // lgkmcnt=-1 vmcnt=30global read wait for DirectToVgpr

/*  grEndMfmaIndex:0, lwStartMfmaIndex:29, lwEndMfmaIndex:29  */
/*  numMfmaForLR:0, barrierMfmaIndex:31, LocalWritePerMfma:0.165 */
/*  mfmaIndex:1  */
_ds_load_b32 v[vgprValuA_X0_I0+0], v[vgprLocalReadAddrA] offset:256 // L -> Reg lro=64 swapByteOffset=0 ti=16 vIdx=0 rIdx=0 oIdx=0 buffer=0 iui=0
/* localReadsVacancy: latencyLeft 3 */
s_waitcnt lgkmcnt(1)                               // lgkmcnt=0 vmcnt=-1wait for prior local read local write old=0, new=1 newLW=0 newLR=1
v_mfma_f32_16x16x1_4b_f32 a[0+0:15+0], v[vgprValuA_X1_I0+0+0+0], v[vgprG2LB+33+0], a[0:15]
/* numPrefetchIter=0 */
/* dataAtIterA=0 numReadsIterA=2 skipReadsIterA=1 readsPerIterA=1 */
/* dataAtIterB=0 numReadsIterB=2 skipReadsIterB=1 readsPerIterB=1 */


/* iter 2 (last unrolled loop) */

s_waitcnt vmcnt(29)                                // lgkmcnt=-1 vmcnt=29global read wait for DirectToVgpr

/*  grEndMfmaIndex:0, lwStartMfmaIndex:29, lwEndMfmaIndex:29  */
/*  numMfmaForLR:0, barrierMfmaIndex:31, LocalWritePerMfma:0.165 */
/*  mfmaIndex:2  */
_ds_load_b32 v[vgprValuA_X1_I0+0], v[vgprLocalReadAddrA] offset:384 // L -> Reg lro=96 swapByteOffset=0 ti=16 vIdx=0 rIdx=0 oIdx=0 buffer=1 iui=0
/* localReadsVacancy: latencyLeft 3 */
s_waitcnt lgkmcnt(1)                               // lgkmcnt=0 vmcnt=-1wait for prior local read local write old=0, new=1 newLW=0 newLR=1
v_mfma_f32_16x16x1_4b_f32 a[0+0:15+0], v[vgprValuA_X0_I0+0+0+0], v[vgprG2LB+34+0], a[0:15]
/* numPrefetchIter=0 */
/* dataAtIterA=1 numReadsIterA=3 skipReadsIterA=1 readsPerIterA=1 */
/* dataAtIterB=1 numReadsIterB=3 skipReadsIterB=1 readsPerIterB=1 */


/* iter 3 (last unrolled loop) */

s_waitcnt vmcnt(28)                                // lgkmcnt=-1 vmcnt=28global read wait for DirectToVgpr

/*  grEndMfmaIndex:0, lwStartMfmaIndex:29, lwEndMfmaIndex:29  */
/*  numMfmaForLR:0, barrierMfmaIndex:31, LocalWritePerMfma:0.165 */
/*  mfmaIndex:3  */
_ds_load_b32 v[vgprValuA_X0_I0+0], v[vgprLocalReadAddrA] offset:512 // L -> Reg lro=128 swapByteOffset=0 ti=16 vIdx=0 rIdx=0 oIdx=0 buffer=0 iui=0
/* localReadsVacancy: latencyLeft 3 */
s_waitcnt lgkmcnt(1)                               // lgkmcnt=0 vmcnt=-1wait for prior local read local write old=0, new=1 newLW=0 newLR=1
v_mfma_f32_16x16x1_4b_f32 a[0+0:15+0], v[vgprValuA_X1_I0+0+0+0], v[vgprG2LB+35+0], a[0:15]
/* numPrefetchIter=0 */
/* dataAtIterA=2 numReadsIterA=4 skipReadsIterA=1 readsPerIterA=1 */
/* dataAtIterB=2 numReadsIterB=4 skipReadsIterB=1 readsPerIterB=1 */


/* iter 4 (last unrolled loop) */

s_waitcnt vmcnt(27)                                // lgkmcnt=-1 vmcnt=27global read wait for DirectToVgpr

/*  grEndMfmaIndex:0, lwStartMfmaIndex:29, lwEndMfmaIndex:29  */
/*  numMfmaForLR:0, barrierMfmaIndex:31, LocalWritePerMfma:0.165 */
/*  mfmaIndex:4  */
_ds_load_b32 v[vgprValuA_X1_I0+0], v[vgprLocalReadAddrA] offset:640 // L -> Reg lro=160 swapByteOffset=0 ti=16 vIdx=0 rIdx=0 oIdx=0 buffer=1 iui=0
/* localReadsVacancy: latencyLeft 3 */
s_waitcnt lgkmcnt(1)                               // lgkmcnt=0 vmcnt=-1wait for prior local read local write old=0, new=1 newLW=0 newLR=1
v_mfma_f32_16x16x1_4b_f32 a[0+0:15+0], v[vgprValuA_X0_I0+0+0+0], v[vgprG2LB+36+0], a[0:15]
/* numPrefetchIter=0 */
/* dataAtIterA=3 numReadsIterA=5 skipReadsIterA=1 readsPerIterA=1 */
/* dataAtIterB=3 numReadsIterB=5 skipReadsIterB=1 readsPerIterB=1 */


/* iter 5 (last unrolled loop) */

s_waitcnt vmcnt(26)                                // lgkmcnt=-1 vmcnt=26global read wait for DirectToVgpr

/*  grEndMfmaIndex:0, lwStartMfmaIndex:29, lwEndMfmaIndex:29  */
/*  numMfmaForLR:0, barrierMfmaIndex:31, LocalWritePerMfma:0.165 */
/*  mfmaIndex:5  */
_ds_load_b32 v[vgprValuA_X0_I0+0], v[vgprLocalReadAddrA] offset:768 // L -> Reg lro=192 swapByteOffset=0 ti=16 vIdx=0 rIdx=0 oIdx=0 buffer=0 iui=0
/* localReadsVacancy: latencyLeft 3 */
s_waitcnt lgkmcnt(1)                               // lgkmcnt=0 vmcnt=-1wait for prior local read local write old=0, new=1 newLW=0 newLR=1
v_mfma_f32_16x16x1_4b_f32 a[0+0:15+0], v[vgprValuA_X1_I0+0+0+0], v[vgprG2LB+37+0], a[0:15]
/* numPrefetchIter=0 */
/* dataAtIterA=4 numReadsIterA=6 skipReadsIterA=1 readsPerIterA=1 */
/* dataAtIterB=4 numReadsIterB=6 skipReadsIterB=1 readsPerIterB=1 */


/* iter 6 (last unrolled loop) */

s_waitcnt vmcnt(25)                                // lgkmcnt=-1 vmcnt=25global read wait for DirectToVgpr

/*  grEndMfmaIndex:0, lwStartMfmaIndex:29, lwEndMfmaIndex:29  */
/*  numMfmaForLR:0, barrierMfmaIndex:31, LocalWritePerMfma:0.165 */
/*  mfmaIndex:6  */
_ds_load_b32 v[vgprValuA_X1_I0+0], v[vgprLocalReadAddrA] offset:896 // L -> Reg lro=224 swapByteOffset=0 ti=16 vIdx=0 rIdx=0 oIdx=0 buffer=1 iui=0
/* localReadsVacancy: latencyLeft 3 */
s_waitcnt lgkmcnt(1)                               // lgkmcnt=0 vmcnt=-1wait for prior local read local write old=0, new=1 newLW=0 newLR=1
v_mfma_f32_16x16x1_4b_f32 a[0+0:15+0], v[vgprValuA_X0_I0+0+0+0], v[vgprG2LB+38+0], a[0:15]
/* numPrefetchIter=0 */
/* dataAtIterA=5 numReadsIterA=7 skipReadsIterA=1 readsPerIterA=1 */
/* dataAtIterB=5 numReadsIterB=7 skipReadsIterB=1 readsPerIterB=1 */


/* iter 7 (last unrolled loop) */

s_waitcnt vmcnt(24)                                // lgkmcnt=-1 vmcnt=24global read wait for DirectToVgpr

/*  grEndMfmaIndex:0, lwStartMfmaIndex:29, lwEndMfmaIndex:29  */
/*  numMfmaForLR:0, barrierMfmaIndex:31, LocalWritePerMfma:0.165 */
/*  mfmaIndex:7  */
_ds_load_b32 v[vgprValuA_X0_I0+0], v[vgprLocalReadAddrA] offset:1024 // L -> Reg lro=256 swapByteOffset=0 ti=16 vIdx=0 rIdx=0 oIdx=0 buffer=0 iui=0
/* localReadsVacancy: latencyLeft 3 */
s_waitcnt lgkmcnt(1)                               // lgkmcnt=0 vmcnt=-1wait for prior local read local write old=0, new=1 newLW=0 newLR=1
v_mfma_f32_16x16x1_4b_f32 a[0+0:15+0], v[vgprValuA_X1_I0+0+0+0], v[vgprG2LB+39+0], a[0:15]
/* numPrefetchIter=0 */
/* dataAtIterA=6 numReadsIterA=8 skipReadsIterA=1 readsPerIterA=1 */
/* dataAtIterB=6 numReadsIterB=8 skipReadsIterB=1 readsPerIterB=1 */


/* iter 8 (last unrolled loop) */

s_waitcnt vmcnt(23)                                // lgkmcnt=-1 vmcnt=23global read wait for DirectToVgpr

/*  grEndMfmaIndex:0, lwStartMfmaIndex:29, lwEndMfmaIndex:29  */
/*  numMfmaForLR:0, barrierMfmaIndex:31, LocalWritePerMfma:0.165 */
/*  mfmaIndex:8  */
_ds_load_b32 v[vgprValuA_X1_I0+0], v[vgprLocalReadAddrA] offset:1152 // L -> Reg lro=288 swapByteOffset=0 ti=16 vIdx=0 rIdx=0 oIdx=0 buffer=1 iui=0
/* localReadsVacancy: latencyLeft 3 */
s_waitcnt lgkmcnt(1)                               // lgkmcnt=0 vmcnt=-1wait for prior local read local write old=0, new=1 newLW=0 newLR=1
v_mfma_f32_16x16x1_4b_f32 a[0+0:15+0], v[vgprValuA_X0_I0+0+0+0], v[vgprG2LB+40+0], a[0:15]
/* numPrefetchIter=0 */
/* dataAtIterA=7 numReadsIterA=9 skipReadsIterA=1 readsPerIterA=1 */
/* dataAtIterB=7 numReadsIterB=9 skipReadsIterB=1 readsPerIterB=1 */


/* iter 9 (last unrolled loop) */

s_waitcnt vmcnt(22)                                // lgkmcnt=-1 vmcnt=22global read wait for DirectToVgpr

/*  grEndMfmaIndex:0, lwStartMfmaIndex:29, lwEndMfmaIndex:29  */
/*  numMfmaForLR:0, barrierMfmaIndex:31, LocalWritePerMfma:0.165 */
/*  mfmaIndex:9  */
_ds_load_b32 v[vgprValuA_X0_I0+0], v[vgprLocalReadAddrA] offset:1280 // L -> Reg lro=320 swapByteOffset=0 ti=16 vIdx=0 rIdx=0 oIdx=0 buffer=0 iui=0
/* localReadsVacancy: latencyLeft 3 */
s_waitcnt lgkmcnt(1)                               // lgkmcnt=0 vmcnt=-1wait for prior local read local write old=0, new=1 newLW=0 newLR=1
v_mfma_f32_16x16x1_4b_f32 a[0+0:15+0], v[vgprValuA_X1_I0+0+0+0], v[vgprG2LB+41+0], a[0:15]
/* numPrefetchIter=0 */
/* dataAtIterA=8 numReadsIterA=10 skipReadsIterA=1 readsPerIterA=1 */
/* dataAtIterB=8 numReadsIterB=10 skipReadsIterB=1 readsPerIterB=1 */


/* iter 10 (last unrolled loop) */

s_waitcnt vmcnt(21)                                // lgkmcnt=-1 vmcnt=21global read wait for DirectToVgpr

/*  grEndMfmaIndex:0, lwStartMfmaIndex:29, lwEndMfmaIndex:29  */
/*  numMfmaForLR:0, barrierMfmaIndex:31, LocalWritePerMfma:0.165 */
/*  mfmaIndex:10  */
_ds_load_b32 v[vgprValuA_X1_I0+0], v[vgprLocalReadAddrA] offset:1408 // L -> Reg lro=352 swapByteOffset=0 ti=16 vIdx=0 rIdx=0 oIdx=0 buffer=1 iui=0
/* localReadsVacancy: latencyLeft 3 */
s_waitcnt lgkmcnt(1)                               // lgkmcnt=0 vmcnt=-1wait for prior local read local write old=0, new=1 newLW=0 newLR=1
v_mfma_f32_16x16x1_4b_f32 a[0+0:15+0], v[vgprValuA_X0_I0+0+0+0], v[vgprG2LB+42+0], a[0:15]
/* numPrefetchIter=0 */
/* dataAtIterA=9 numReadsIterA=11 skipReadsIterA=1 readsPerIterA=1 */
/* dataAtIterB=9 numReadsIterB=11 skipReadsIterB=1 readsPerIterB=1 */


/* iter 11 (last unrolled loop) */

s_waitcnt vmcnt(20)                                // lgkmcnt=-1 vmcnt=20global read wait for DirectToVgpr

/*  grEndMfmaIndex:0, lwStartMfmaIndex:29, lwEndMfmaIndex:29  */
/*  numMfmaForLR:0, barrierMfmaIndex:31, LocalWritePerMfma:0.165 */
/*  mfmaIndex:11  */
_ds_load_b32 v[vgprValuA_X0_I0+0], v[vgprLocalReadAddrA] offset:1536 // L -> Reg lro=384 swapByteOffset=0 ti=16 vIdx=0 rIdx=0 oIdx=0 buffer=0 iui=0
/* localReadsVacancy: latencyLeft 3 */
s_waitcnt lgkmcnt(1)                               // lgkmcnt=0 vmcnt=-1wait for prior local read local write old=0, new=1 newLW=0 newLR=1
v_mfma_f32_16x16x1_4b_f32 a[0+0:15+0], v[vgprValuA_X1_I0+0+0+0], v[vgprG2LB+43+0], a[0:15]
/* numPrefetchIter=0 */
/* dataAtIterA=10 numReadsIterA=12 skipReadsIterA=1 readsPerIterA=1 */
/* dataAtIterB=10 numReadsIterB=12 skipReadsIterB=1 readsPerIterB=1 */


/* iter 12 (last unrolled loop) */

s_waitcnt vmcnt(19)                                // lgkmcnt=-1 vmcnt=19global read wait for DirectToVgpr

/*  grEndMfmaIndex:0, lwStartMfmaIndex:29, lwEndMfmaIndex:29  */
/*  numMfmaForLR:0, barrierMfmaIndex:31, LocalWritePerMfma:0.165 */
/*  mfmaIndex:12  */
_ds_load_b32 v[vgprValuA_X1_I0+0], v[vgprLocalReadAddrA] offset:1664 // L -> Reg lro=416 swapByteOffset=0 ti=16 vIdx=0 rIdx=0 oIdx=0 buffer=1 iui=0
/* localReadsVacancy: latencyLeft 3 */
s_waitcnt lgkmcnt(1)                               // lgkmcnt=0 vmcnt=-1wait for prior local read local write old=0, new=1 newLW=0 newLR=1
v_mfma_f32_16x16x1_4b_f32 a[0+0:15+0], v[vgprValuA_X0_I0+0+0+0], v[vgprG2LB+44+0], a[0:15]
/* numPrefetchIter=0 */
/* dataAtIterA=11 numReadsIterA=13 skipReadsIterA=1 readsPerIterA=1 */
/* dataAtIterB=11 numReadsIterB=13 skipReadsIterB=1 readsPerIterB=1 */


/* iter 13 (last unrolled loop) */

s_waitcnt vmcnt(18)                                // lgkmcnt=-1 vmcnt=18global read wait for DirectToVgpr

/*  grEndMfmaIndex:0, lwStartMfmaIndex:29, lwEndMfmaIndex:29  */
/*  numMfmaForLR:0, barrierMfmaIndex:31, LocalWritePerMfma:0.165 */
/*  mfmaIndex:13  */
_ds_load_b32 v[vgprValuA_X0_I0+0], v[vgprLocalReadAddrA] offset:1792 // L -> Reg lro=448 swapByteOffset=0 ti=16 vIdx=0 rIdx=0 oIdx=0 buffer=0 iui=0
/* localReadsVacancy: latencyLeft 3 */
s_waitcnt lgkmcnt(1)                               // lgkmcnt=0 vmcnt=-1wait for prior local read local write old=0, new=1 newLW=0 newLR=1
v_mfma_f32_16x16x1_4b_f32 a[0+0:15+0], v[vgprValuA_X1_I0+0+0+0], v[vgprG2LB+45+0], a[0:15]
/* numPrefetchIter=0 */
/* dataAtIterA=12 numReadsIterA=14 skipReadsIterA=1 readsPerIterA=1 */
/* dataAtIterB=12 numReadsIterB=14 skipReadsIterB=1 readsPerIterB=1 */


/* iter 14 (last unrolled loop) */

s_waitcnt vmcnt(17)                                // lgkmcnt=-1 vmcnt=17global read wait for DirectToVgpr

/*  grEndMfmaIndex:0, lwStartMfmaIndex:29, lwEndMfmaIndex:29  */
/*  numMfmaForLR:0, barrierMfmaIndex:31, LocalWritePerMfma:0.165 */
/*  mfmaIndex:14  */
_ds_load_b32 v[vgprValuA_X1_I0+0], v[vgprLocalReadAddrA] offset:1920 // L -> Reg lro=480 swapByteOffset=0 ti=16 vIdx=0 rIdx=0 oIdx=0 buffer=1 iui=0
/* localReadsVacancy: latencyLeft 3 */
s_waitcnt lgkmcnt(1)                               // lgkmcnt=0 vmcnt=-1wait for prior local read local write old=0, new=1 newLW=0 newLR=1
v_mfma_f32_16x16x1_4b_f32 a[0+0:15+0], v[vgprValuA_X0_I0+0+0+0], v[vgprG2LB+46+0], a[0:15]
/* numPrefetchIter=0 */
/* dataAtIterA=13 numReadsIterA=15 skipReadsIterA=1 readsPerIterA=1 */
/* dataAtIterB=13 numReadsIterB=15 skipReadsIterB=1 readsPerIterB=1 */


/* iter 15 (last unrolled loop) */

s_waitcnt vmcnt(16)                                // lgkmcnt=-1 vmcnt=16global read wait for DirectToVgpr

/*  grEndMfmaIndex:0, lwStartMfmaIndex:29, lwEndMfmaIndex:29  */
/*  numMfmaForLR:0, barrierMfmaIndex:31, LocalWritePerMfma:0.165 */
/*  mfmaIndex:15  */
_ds_load_b32 v[vgprValuA_X0_I0+0], v[vgprLocalReadAddrA] offset:2048 // L -> Reg lro=512 swapByteOffset=0 ti=16 vIdx=0 rIdx=0 oIdx=0 buffer=0 iui=0
/* localReadsVacancy: latencyLeft 3 */
s_waitcnt lgkmcnt(1)                               // lgkmcnt=0 vmcnt=-1wait for prior local read local write old=0, new=1 newLW=0 newLR=1
v_mfma_f32_16x16x1_4b_f32 a[0+0:15+0], v[vgprValuA_X1_I0+0+0+0], v[vgprG2LB+47+0], a[0:15]
/* numPrefetchIter=0 */
/* dataAtIterA=14 numReadsIterA=16 skipReadsIterA=1 readsPerIterA=1 */
/* dataAtIterB=14 numReadsIterB=16 skipReadsIterB=1 readsPerIterB=1 */


/* iter 16 (last unrolled loop) */

s_waitcnt vmcnt(15)                                // lgkmcnt=-1 vmcnt=15global read wait for DirectToVgpr

/*  grEndMfmaIndex:0, lwStartMfmaIndex:29, lwEndMfmaIndex:29  */
/*  numMfmaForLR:0, barrierMfmaIndex:31, LocalWritePerMfma:0.165 */
/*  mfmaIndex:16  */
_ds_load_b32 v[vgprValuA_X1_I0+0], v[vgprLocalReadAddrA] offset:2176 // L -> Reg lro=544 swapByteOffset=0 ti=16 vIdx=0 rIdx=0 oIdx=0 buffer=1 iui=0
/* localReadsVacancy: latencyLeft 3 */
s_waitcnt lgkmcnt(1)                               // lgkmcnt=0 vmcnt=-1wait for prior local read local write old=0, new=1 newLW=0 newLR=1
v_mfma_f32_16x16x1_4b_f32 a[0+0:15+0], v[vgprValuA_X0_I0+0+0+0], v[vgprG2LB+48+0], a[0:15]
/* numPrefetchIter=0 */
/* dataAtIterA=15 numReadsIterA=17 skipReadsIterA=1 readsPerIterA=1 */
/* dataAtIterB=15 numReadsIterB=17 skipReadsIterB=1 readsPerIterB=1 */


/* iter 17 (last unrolled loop) */

s_waitcnt vmcnt(14)                                // lgkmcnt=-1 vmcnt=14global read wait for DirectToVgpr

/*  grEndMfmaIndex:0, lwStartMfmaIndex:29, lwEndMfmaIndex:29  */
/*  numMfmaForLR:0, barrierMfmaIndex:31, LocalWritePerMfma:0.165 */
/*  mfmaIndex:17  */
_ds_load_b32 v[vgprValuA_X0_I0+0], v[vgprLocalReadAddrA] offset:2304 // L -> Reg lro=576 swapByteOffset=0 ti=16 vIdx=0 rIdx=0 oIdx=0 buffer=0 iui=0
/* localReadsVacancy: latencyLeft 3 */
s_waitcnt lgkmcnt(1)                               // lgkmcnt=0 vmcnt=-1wait for prior local read local write old=0, new=1 newLW=0 newLR=1
v_mfma_f32_16x16x1_4b_f32 a[0+0:15+0], v[vgprValuA_X1_I0+0+0+0], v[vgprG2LB+49+0], a[0:15]
/* numPrefetchIter=0 */
/* dataAtIterA=16 numReadsIterA=18 skipReadsIterA=1 readsPerIterA=1 */
/* dataAtIterB=16 numReadsIterB=18 skipReadsIterB=1 readsPerIterB=1 */


/* iter 18 (last unrolled loop) */

s_waitcnt vmcnt(13)                                // lgkmcnt=-1 vmcnt=13global read wait for DirectToVgpr

/*  grEndMfmaIndex:0, lwStartMfmaIndex:29, lwEndMfmaIndex:29  */
/*  numMfmaForLR:0, barrierMfmaIndex:31, LocalWritePerMfma:0.165 */
/*  mfmaIndex:18  */
_ds_load_b32 v[vgprValuA_X1_I0+0], v[vgprLocalReadAddrA] offset:2432 // L -> Reg lro=608 swapByteOffset=0 ti=16 vIdx=0 rIdx=0 oIdx=0 buffer=1 iui=0
/* localReadsVacancy: latencyLeft 3 */
s_waitcnt lgkmcnt(1)                               // lgkmcnt=0 vmcnt=-1wait for prior local read local write old=0, new=1 newLW=0 newLR=1
v_mfma_f32_16x16x1_4b_f32 a[0+0:15+0], v[vgprValuA_X0_I0+0+0+0], v[vgprG2LB+50+0], a[0:15]
/* numPrefetchIter=0 */
/* dataAtIterA=17 numReadsIterA=19 skipReadsIterA=1 readsPerIterA=1 */
/* dataAtIterB=17 numReadsIterB=19 skipReadsIterB=1 readsPerIterB=1 */


/* iter 19 (last unrolled loop) */

s_waitcnt vmcnt(12)                                // lgkmcnt=-1 vmcnt=12global read wait for DirectToVgpr

/*  grEndMfmaIndex:0, lwStartMfmaIndex:29, lwEndMfmaIndex:29  */
/*  numMfmaForLR:0, barrierMfmaIndex:31, LocalWritePerMfma:0.165 */
/*  mfmaIndex:19  */
_ds_load_b32 v[vgprValuA_X0_I0+0], v[vgprLocalReadAddrA] offset:2560 // L -> Reg lro=640 swapByteOffset=0 ti=16 vIdx=0 rIdx=0 oIdx=0 buffer=0 iui=0
/* localReadsVacancy: latencyLeft 3 */
s_waitcnt lgkmcnt(1)                               // lgkmcnt=0 vmcnt=-1wait for prior local read local write old=0, new=1 newLW=0 newLR=1
v_mfma_f32_16x16x1_4b_f32 a[0+0:15+0], v[vgprValuA_X1_I0+0+0+0], v[vgprG2LB+51+0], a[0:15]
/* numPrefetchIter=0 */
/* dataAtIterA=18 numReadsIterA=20 skipReadsIterA=1 readsPerIterA=1 */
/* dataAtIterB=18 numReadsIterB=20 skipReadsIterB=1 readsPerIterB=1 */


/* iter 20 (last unrolled loop) */

s_waitcnt vmcnt(11)                                // lgkmcnt=-1 vmcnt=11global read wait for DirectToVgpr

/*  grEndMfmaIndex:0, lwStartMfmaIndex:29, lwEndMfmaIndex:29  */
/*  numMfmaForLR:0, barrierMfmaIndex:31, LocalWritePerMfma:0.165 */
/*  mfmaIndex:20  */
_ds_load_b32 v[vgprValuA_X1_I0+0], v[vgprLocalReadAddrA] offset:2688 // L -> Reg lro=672 swapByteOffset=0 ti=16 vIdx=0 rIdx=0 oIdx=0 buffer=1 iui=0
/* localReadsVacancy: latencyLeft 3 */
s_waitcnt lgkmcnt(1)                               // lgkmcnt=0 vmcnt=-1wait for prior local read local write old=0, new=1 newLW=0 newLR=1
v_mfma_f32_16x16x1_4b_f32 a[0+0:15+0], v[vgprValuA_X0_I0+0+0+0], v[vgprG2LB+52+0], a[0:15]
/* numPrefetchIter=0 */
/* dataAtIterA=19 numReadsIterA=21 skipReadsIterA=1 readsPerIterA=1 */
/* dataAtIterB=19 numReadsIterB=21 skipReadsIterB=1 readsPerIterB=1 */


/* iter 21 (last unrolled loop) */

s_waitcnt vmcnt(10)                                // lgkmcnt=-1 vmcnt=10global read wait for DirectToVgpr

/*  grEndMfmaIndex:0, lwStartMfmaIndex:29, lwEndMfmaIndex:29  */
/*  numMfmaForLR:0, barrierMfmaIndex:31, LocalWritePerMfma:0.165 */
/*  mfmaIndex:21  */
_ds_load_b32 v[vgprValuA_X0_I0+0], v[vgprLocalReadAddrA] offset:2816 // L -> Reg lro=704 swapByteOffset=0 ti=16 vIdx=0 rIdx=0 oIdx=0 buffer=0 iui=0
/* localReadsVacancy: latencyLeft 3 */
s_waitcnt lgkmcnt(1)                               // lgkmcnt=0 vmcnt=-1wait for prior local read local write old=0, new=1 newLW=0 newLR=1
v_mfma_f32_16x16x1_4b_f32 a[0+0:15+0], v[vgprValuA_X1_I0+0+0+0], v[vgprG2LB+53+0], a[0:15]
/* numPrefetchIter=0 */
/* dataAtIterA=20 numReadsIterA=22 skipReadsIterA=1 readsPerIterA=1 */
/* dataAtIterB=20 numReadsIterB=22 skipReadsIterB=1 readsPerIterB=1 */


/* iter 22 (last unrolled loop) */

s_waitcnt vmcnt(9)                                 // lgkmcnt=-1 vmcnt=9global read wait for DirectToVgpr

/*  grEndMfmaIndex:0, lwStartMfmaIndex:29, lwEndMfmaIndex:29  */
/*  numMfmaForLR:0, barrierMfmaIndex:31, LocalWritePerMfma:0.165 */
/*  mfmaIndex:22  */
_ds_load_b32 v[vgprValuA_X1_I0+0], v[vgprLocalReadAddrA] offset:2944 // L -> Reg lro=736 swapByteOffset=0 ti=16 vIdx=0 rIdx=0 oIdx=0 buffer=1 iui=0
/* localReadsVacancy: latencyLeft 3 */
s_waitcnt lgkmcnt(1)                               // lgkmcnt=0 vmcnt=-1wait for prior local read local write old=0, new=1 newLW=0 newLR=1
v_mfma_f32_16x16x1_4b_f32 a[0+0:15+0], v[vgprValuA_X0_I0+0+0+0], v[vgprG2LB+54+0], a[0:15]
/* numPrefetchIter=0 */
/* dataAtIterA=21 numReadsIterA=23 skipReadsIterA=1 readsPerIterA=1 */
/* dataAtIterB=21 numReadsIterB=23 skipReadsIterB=1 readsPerIterB=1 */


/* iter 23 (last unrolled loop) */

s_waitcnt vmcnt(8)                                 // lgkmcnt=-1 vmcnt=8global read wait for DirectToVgpr

/*  grEndMfmaIndex:0, lwStartMfmaIndex:29, lwEndMfmaIndex:29  */
/*  numMfmaForLR:0, barrierMfmaIndex:31, LocalWritePerMfma:0.165 */
/*  mfmaIndex:23  */
_ds_load_b32 v[vgprValuA_X0_I0+0], v[vgprLocalReadAddrA] offset:3072 // L -> Reg lro=768 swapByteOffset=0 ti=16 vIdx=0 rIdx=0 oIdx=0 buffer=0 iui=0
/* localReadsVacancy: latencyLeft 3 */
s_waitcnt lgkmcnt(1)                               // lgkmcnt=0 vmcnt=-1wait for prior local read local write old=0, new=1 newLW=0 newLR=1
v_mfma_f32_16x16x1_4b_f32 a[0+0:15+0], v[vgprValuA_X1_I0+0+0+0], v[vgprG2LB+55+0], a[0:15]
/* numPrefetchIter=0 */
/* dataAtIterA=22 numReadsIterA=24 skipReadsIterA=1 readsPerIterA=1 */
/* dataAtIterB=22 numReadsIterB=24 skipReadsIterB=1 readsPerIterB=1 */


/* iter 24 (last unrolled loop) */

s_waitcnt vmcnt(7)                                 // lgkmcnt=-1 vmcnt=7global read wait for DirectToVgpr

/*  grEndMfmaIndex:0, lwStartMfmaIndex:29, lwEndMfmaIndex:29  */
/*  numMfmaForLR:0, barrierMfmaIndex:31, LocalWritePerMfma:0.165 */
/*  mfmaIndex:24  */
_ds_load_b32 v[vgprValuA_X1_I0+0], v[vgprLocalReadAddrA] offset:3200 // L -> Reg lro=800 swapByteOffset=0 ti=16 vIdx=0 rIdx=0 oIdx=0 buffer=1 iui=0
/* localReadsVacancy: latencyLeft 3 */
s_waitcnt lgkmcnt(1)                               // lgkmcnt=0 vmcnt=-1wait for prior local read local write old=0, new=1 newLW=0 newLR=1
v_mfma_f32_16x16x1_4b_f32 a[0+0:15+0], v[vgprValuA_X0_I0+0+0+0], v[vgprG2LB+56+0], a[0:15]
/* numPrefetchIter=0 */
/* dataAtIterA=23 numReadsIterA=25 skipReadsIterA=1 readsPerIterA=1 */
/* dataAtIterB=23 numReadsIterB=25 skipReadsIterB=1 readsPerIterB=1 */


/* iter 25 (last unrolled loop) */

s_waitcnt vmcnt(6)                                 // lgkmcnt=-1 vmcnt=6global read wait for DirectToVgpr

/*  grEndMfmaIndex:0, lwStartMfmaIndex:29, lwEndMfmaIndex:29  */
/*  numMfmaForLR:0, barrierMfmaIndex:31, LocalWritePerMfma:0.165 */
/*  mfmaIndex:25  */
_ds_load_b32 v[vgprValuA_X0_I0+0], v[vgprLocalReadAddrA] offset:3328 // L -> Reg lro=832 swapByteOffset=0 ti=16 vIdx=0 rIdx=0 oIdx=0 buffer=0 iui=0
/* localReadsVacancy: latencyLeft 3 */
s_waitcnt lgkmcnt(1)                               // lgkmcnt=0 vmcnt=-1wait for prior local read local write old=0, new=1 newLW=0 newLR=1
v_mfma_f32_16x16x1_4b_f32 a[0+0:15+0], v[vgprValuA_X1_I0+0+0+0], v[vgprG2LB+57+0], a[0:15]
/* numPrefetchIter=0 */
/* dataAtIterA=24 numReadsIterA=26 skipReadsIterA=1 readsPerIterA=1 */
/* dataAtIterB=24 numReadsIterB=26 skipReadsIterB=1 readsPerIterB=1 */


/* iter 26 (last unrolled loop) */

s_waitcnt vmcnt(5)                                 // lgkmcnt=-1 vmcnt=5global read wait for DirectToVgpr

/*  grEndMfmaIndex:0, lwStartMfmaIndex:29, lwEndMfmaIndex:29  */
/*  numMfmaForLR:0, barrierMfmaIndex:31, LocalWritePerMfma:0.165 */
/*  mfmaIndex:26  */
_ds_load_b32 v[vgprValuA_X1_I0+0], v[vgprLocalReadAddrA] offset:3456 // L -> Reg lro=864 swapByteOffset=0 ti=16 vIdx=0 rIdx=0 oIdx=0 buffer=1 iui=0
/* localReadsVacancy: latencyLeft 3 */
s_waitcnt lgkmcnt(1)                               // lgkmcnt=0 vmcnt=-1wait for prior local read local write old=0, new=1 newLW=0 newLR=1
v_mfma_f32_16x16x1_4b_f32 a[0+0:15+0], v[vgprValuA_X0_I0+0+0+0], v[vgprG2LB+58+0], a[0:15]
/* numPrefetchIter=0 */
/* dataAtIterA=25 numReadsIterA=27 skipReadsIterA=1 readsPerIterA=1 */
/* dataAtIterB=25 numReadsIterB=27 skipReadsIterB=1 readsPerIterB=1 */


/* iter 27 (last unrolled loop) */

s_waitcnt vmcnt(4)                                 // lgkmcnt=-1 vmcnt=4global read wait for DirectToVgpr

/*  grEndMfmaIndex:0, lwStartMfmaIndex:29, lwEndMfmaIndex:29  */
/*  numMfmaForLR:0, barrierMfmaIndex:31, LocalWritePerMfma:0.165 */
/*  mfmaIndex:27  */
_ds_load_b32 v[vgprValuA_X0_I0+0], v[vgprLocalReadAddrA] offset:3584 // L -> Reg lro=896 swapByteOffset=0 ti=16 vIdx=0 rIdx=0 oIdx=0 buffer=0 iui=0
/* localReadsVacancy: latencyLeft 3 */
s_waitcnt lgkmcnt(1)                               // lgkmcnt=0 vmcnt=-1wait for prior local read local write old=0, new=1 newLW=0 newLR=1
v_mfma_f32_16x16x1_4b_f32 a[0+0:15+0], v[vgprValuA_X1_I0+0+0+0], v[vgprG2LB+59+0], a[0:15]
/* numPrefetchIter=0 */
/* dataAtIterA=26 numReadsIterA=28 skipReadsIterA=1 readsPerIterA=1 */
/* dataAtIterB=26 numReadsIterB=28 skipReadsIterB=1 readsPerIterB=1 */


/* iter 28 (last unrolled loop) */

s_waitcnt vmcnt(3)                                 // lgkmcnt=-1 vmcnt=3global read wait for DirectToVgpr

/*  grEndMfmaIndex:0, lwStartMfmaIndex:29, lwEndMfmaIndex:29  */
/*  numMfmaForLR:0, barrierMfmaIndex:31, LocalWritePerMfma:0.165 */
/*  mfmaIndex:28  */
_ds_load_b32 v[vgprValuA_X1_I0+0], v[vgprLocalReadAddrA] offset:3712 // L -> Reg lro=928 swapByteOffset=0 ti=16 vIdx=0 rIdx=0 oIdx=0 buffer=1 iui=0
/* localReadsVacancy: latencyLeft 3 */
s_waitcnt lgkmcnt(1)                               // lgkmcnt=0 vmcnt=-1wait for prior local read local write old=0, new=1 newLW=0 newLR=1
v_mfma_f32_16x16x1_4b_f32 a[0+0:15+0], v[vgprValuA_X0_I0+0+0+0], v[vgprG2LB+60+0], a[0:15]
/* numPrefetchIter=0 */
/* dataAtIterA=27 numReadsIterA=29 skipReadsIterA=1 readsPerIterA=1 */
/* dataAtIterB=27 numReadsIterB=29 skipReadsIterB=1 readsPerIterB=1 */


/* iter 29 (last unrolled loop) */

s_waitcnt vmcnt(2)                                 // lgkmcnt=-1 vmcnt=2global read wait for DirectToVgpr

/*  grEndMfmaIndex:0, lwStartMfmaIndex:29, lwEndMfmaIndex:29  */
/*  numMfmaForLR:0, barrierMfmaIndex:31, LocalWritePerMfma:0.165 */
/*  mfmaIndex:29  */
_ds_load_b32 v[vgprValuA_X0_I0+0], v[vgprLocalReadAddrA] offset:3840 // L -> Reg lro=960 swapByteOffset=0 ti=16 vIdx=0 rIdx=0 oIdx=0 buffer=0 iui=0
/* localReadsVacancy: latencyLeft 3 */
s_waitcnt lgkmcnt(1)                               // lgkmcnt=0 vmcnt=-1wait for prior local read local write old=0, new=1 newLW=0 newLR=1
v_mfma_f32_16x16x1_4b_f32 a[0+0:15+0], v[vgprValuA_X1_I0+0+0+0], v[vgprG2LB+61+0], a[0:15]
/* numPrefetchIter=0 */
/* dataAtIterA=28 numReadsIterA=30 skipReadsIterA=1 readsPerIterA=1 */
/* dataAtIterB=28 numReadsIterB=30 skipReadsIterB=1 readsPerIterB=1 */


/* iter 30 (last unrolled loop) */

s_waitcnt vmcnt(1)                                 // lgkmcnt=-1 vmcnt=1global read wait for DirectToVgpr

/*  grEndMfmaIndex:0, lwStartMfmaIndex:29, lwEndMfmaIndex:29  */
/*  numMfmaForLR:0, barrierMfmaIndex:31, LocalWritePerMfma:0.165 */
/*  mfmaIndex:30  */
_ds_load_b32 v[vgprValuA_X1_I0+0], v[vgprLocalReadAddrA] offset:3968 // L -> Reg lro=992 swapByteOffset=0 ti=16 vIdx=0 rIdx=0 oIdx=0 buffer=1 iui=0
/* localReadsVacancy: latencyLeft 3 */
s_waitcnt lgkmcnt(1)                               // lgkmcnt=0 vmcnt=-1wait for prior local read local write old=0, new=1 newLW=0 newLR=1
v_mfma_f32_16x16x1_4b_f32 a[0+0:15+0], v[vgprValuA_X0_I0+0+0+0], v[vgprG2LB+62+0], a[0:15]
/* numPrefetchIter=0 */
/* dataAtIterA=29 numReadsIterA=31 skipReadsIterA=1 readsPerIterA=1 */
/* dataAtIterB=29 numReadsIterB=31 skipReadsIterB=1 readsPerIterB=1 */


/* iter 31 (last unrolled loop) */

s_waitcnt vmcnt(0)                                 // lgkmcnt=-1 vmcnt=0global read wait for DirectToVgpr

/*  grEndMfmaIndex:0, lwStartMfmaIndex:29, lwEndMfmaIndex:29  */
/*  numMfmaForLR:0, barrierMfmaIndex:31, LocalWritePerMfma:0.165 */
/*  mfmaIndex:31  */
s_waitcnt lgkmcnt(0)                               // lgkmcnt=0 vmcnt=-1wait for prior local read local write old=0, new=0 newLW=0 newLR=0
v_mfma_f32_16x16x1_4b_f32 a[0+0:15+0], v[vgprValuA_X1_I0+0+0+0], v[vgprG2LB+63+0], a[0:15]
/* numPrefetchIter=0 */
/* dataAtIterA=30 numReadsIterA=31 skipReadsIterA=0 readsPerIterA=1 */
/* dataAtIterB=30 numReadsIterB=31 skipReadsIterB=0 readsPerIterB=1 */

label_0033: // EvenEndNoLoadLoopOrd 

PrefetchGlobalLastIterEnd_5:


/******************************************/
/* Tail Loop                              */
/******************************************/


/* local write reset offsets a */


v_and_b32 v[vgprLocalWriteAddrA], 0xf00fff, v[vgprLocalWriteAddrA] // reset to Red


/* local write reset offsets b */


	;; [unrolled: 1-line block ×4, first 2 shown]
//numIterL = (((sizeL % LOCAL_DEPTHU) + LOCAL_SPLITU - 1) / LOCAL_SPLITU)
s_and_b32 s[sgprLoopCounterL], 31, s[sgprSizesSum+0] // s[sgprLoopCounterL] = s[sgprSizesSum+0] % 32
s_cmp_eq_u32 s[sgprLoopCounterL], 0x0              // numIterL == 0
s_cbranch_scc1 SkipTailLoopL_8                     // skip to end of tail loop b/c numIter==0
s_mov_b32 s[sgprOrigLoopCounter], 0                // repurpose to count each localRead increment


/* remove stagger offsets for tail loop */

s_mov_b32 s58, 3                                   // 
s_mul_hi_u32 s57, s58, s[sgprGlobalReadIncsA+0]    // 3 * GlobalReadIncs
s_mul_i32 s56, s58, s[sgprGlobalReadIncsA+0]       // 3 * GlobalReadIncs
s_mul_hi_u32 s59, s[sgprStaggerUIter], s[sgprGlobalReadIncsA+0] // StaggerUIter * GlobalReadIncs
s_mul_i32 s58, s[sgprStaggerUIter], s[sgprGlobalReadIncsA+0] // StaggerUIter * GlobalReadIncs
s_sub_u32 s56, s56, s58                            // start offset S in bytes
s_subb_u32 s57, s57, s59                           // start offset S in bytes
s_sub_u32 s56, s56, s[sgprWrapUA]                  // S - WrapU
s_subb_u32 s57, s57, s[sgprWrapUA+1]               // S - WrapU
s_add_u32 s[sgprSrdA+0], s[sgprSrdA+0], s56        // gra SRD += inc(lower)
s_addc_u32  s[sgprSrdA+1], s[sgprSrdA+1], s57      // gra SRD += inc(upper)
s_sub_u32 s[sgprShadowLimitA+0], s[sgprShadowLimitA+0], s56 // limit -= inc)
s_subb_u32 s[sgprShadowLimitA+1], s[sgprShadowLimitA+1], s57 // limit -= inc)
s_cmp_eq_u32 s[sgprShadowLimitA+1], 0              // are we within 2^32?
s_cselect_b32 s[sgprSrdA+2], s[sgprShadowLimitA+0], BufferLimitA // Move shadow to real if we are within 2^32

s_mov_b32 s58, 3                                   // 
s_mul_hi_u32 s57, s58, s[sgprGlobalReadIncsB+0]    // 3 * GlobalReadIncs
s_mul_i32 s56, s58, s[sgprGlobalReadIncsB+0]       // 3 * GlobalReadIncs
s_mul_hi_u32 s59, s[sgprStaggerUIter], s[sgprGlobalReadIncsB+0] // StaggerUIter * GlobalReadIncs
s_mul_i32 s58, s[sgprStaggerUIter], s[sgprGlobalReadIncsB+0] // StaggerUIter * GlobalReadIncs
s_sub_u32 s56, s56, s58                            // start offset S in bytes
s_subb_u32 s57, s57, s59                           // start offset S in bytes
s_sub_u32 s56, s56, s[sgprWrapUB]                  // S - WrapU
s_subb_u32 s57, s57, s[sgprWrapUB+1]               // S - WrapU
s_add_u32 s[sgprSrdB+0], s[sgprSrdB+0], s56        // gra SRD += inc(lower)
s_addc_u32  s[sgprSrdB+1], s[sgprSrdB+1], s57      // gra SRD += inc(upper)
s_sub_u32 s[sgprShadowLimitB+0], s[sgprShadowLimitB+0], s56 // limit -= inc)
s_subb_u32 s[sgprShadowLimitB+1], s[sgprShadowLimitB+1], s57 // limit -= inc)
s_cmp_eq_u32 s[sgprShadowLimitB+1], 0              // are we within 2^32?
s_cselect_b32 s[sgprSrdB+2], s[sgprShadowLimitB+0], BufferLimitB // Move shadow to real if we are within 2^32


/* Update M0 for DTLDS */


	;; [unrolled: 1-line block ×3, first 2 shown]
/* global read a */

/* g2l=0, load component 0 */
_buffer_load_b32 v[vgprG2LA+0+0], v[vgprGlobalReadOffsetA+0], s[sgprSrdA:sgprSrdA+3], 0, offen offset:0 // load one buffer value
/* g2l=1, load component 0 */
_buffer_load_b32 v[vgprG2LA+1+0], v[vgprGlobalReadOffsetA+1], s[sgprSrdA:sgprSrdA+3], 0, offen offset:0 // load one buffer value


/* Update M0 for DTLDS */


	;; [unrolled: 1-line block ×3, first 2 shown]
/* global read b */

/* g2l=0, load component 0 */
_buffer_load_b32 v[vgprG2LB+0+0], v[vgprGlobalReadOffsetB+0], s[sgprSrdB:sgprSrdB+3], 0, offen offset:0 // load one buffer value
/* g2l=1, load component 0 */
_buffer_load_b32 v[vgprG2LB+1+0], v[vgprGlobalReadOffsetB+1], s[sgprSrdB:sgprSrdB+3], 0, offen offset:0 // load one buffer value
	;; [unrolled: 2-line block ×32, first 2 shown]

s_waitcnt vmcnt(0)                                 // lgkmcnt=-1 vmcnt=02wait for global read

// Skip force waitcnt0
s_barrier //


/* Done global A/B reads */


	;; [unrolled: 1-line block ×4, first 2 shown]
/* local write a */

_ds_store_b32 v[vgprLocalWriteAddrA], v[vgprG2LA+0] offset:0 // lwoA_0_0_0_0 = (0*LSCA) + (0*LSPA)(*MT0I+PAD) = 0
_ds_store_b32 v[vgprLocalWriteAddrA], v[vgprG2LA+1] offset:2048 // lwoA_0_0_1_0 = (0*LSCA) + (1*LSPA)(*MT0I+PAD) = 2048


/* local write b */


s_waitcnt lgkmcnt(0)                               // lgkmcnt=0 vmcnt=-15wait for local write

// Skip force waitcnt0
s_barrier //


/* local read reset offsets a */


/* localReadResetOffsets */
/* handled internally */
v_and_b32 v[vgprLocalReadAddrA], 0xfff, v[vgprLocalReadAddrA] // reset Red,Blk -> Red


/* local read reset offsets b */


	;; [unrolled: 1-line block ×3, first 2 shown]
/* local read init pointers a */


/* localReadInitPointers */


/* local read init pointers b */



/* tail loop: macs */

TailLoopBeginL_6:


/* tail loop unroll iter 0 */


/* local read a */

_ds_load_b32 v[vgprValuA_X0_I0+0], v[vgprLocalReadAddrA] offset:0 // L -> Reg lro=0 swapByteOffset=0 ti=16 vIdx=0 rIdx=0 oIdx=0 buffer=0 iui=0


/* local read b */


	;; [unrolled: 1-line block ×3, first 2 shown]
/* local read inc a */

s_mov_b32 s56, 0x80                                // inc
_v_add_co_u32 v[vgprLocalReadAddrA], vcc, s56, v[vgprLocalReadAddrA] // lrA += 128 (LSU*(MT+PAD)*bpe)


/* local read inc b */


s_waitcnt lgkmcnt(0)                               // lgkmcnt=0 vmcnt=-14wait for local read


v_mfma_f32_16x16x1_4b_f32 a[0+0:15+0], v[vgprValuA_X0_I0+0+0+0], v[vgprG2LB+0+0], a[0:15]


/* closeLoop loopL finalLoop=0 tailLoop=1 */
s_sub_i32 s[sgprLoopCounterL], s[sgprLoopCounterL], 0x1 // dec counterL (tailLoop)
s_add_u32 s[sgprOrigLoopCounter], s[sgprOrigLoopCounter], 0x1 // inc counterL
s_cmp_le_i32 s[sgprLoopCounterL], 0x0              // counterL<=0
s_cbranch_scc1 TailLoopEndL_7                      // exit LoopL


/* tail loop unroll iter 1 */


/* local read a */

_ds_load_b32 v[vgprValuA_X1_I0+0], v[vgprLocalReadAddrA] offset:0 // L -> Reg lro=0 swapByteOffset=0 ti=16 vIdx=0 rIdx=0 oIdx=0 buffer=1 iui=0


/* local read b */


	;; [unrolled: 1-line block ×3, first 2 shown]
/* local read inc a */

s_mov_b32 s56, 0x80                                // inc
_v_add_co_u32 v[vgprLocalReadAddrA], vcc, s56, v[vgprLocalReadAddrA] // lrA += 128 (LSU*(MT+PAD)*bpe)


/* local read inc b */


s_waitcnt lgkmcnt(0)                               // lgkmcnt=0 vmcnt=-14wait for local read


v_mfma_f32_16x16x1_4b_f32 a[0+0:15+0], v[vgprValuA_X1_I0+0+0+0], v[vgprG2LB+1+0], a[0:15]


/* closeLoop loopL finalLoop=0 tailLoop=1 */
s_sub_i32 s[sgprLoopCounterL], s[sgprLoopCounterL], 0x1 // dec counterL (tailLoop)
s_add_u32 s[sgprOrigLoopCounter], s[sgprOrigLoopCounter], 0x1 // inc counterL
s_cmp_le_i32 s[sgprLoopCounterL], 0x0              // counterL<=0
s_cbranch_scc1 TailLoopEndL_7                      // exit LoopL


/* tail loop unroll iter 2 */


/* local read a */

_ds_load_b32 v[vgprValuA_X0_I0+0], v[vgprLocalReadAddrA] offset:0 // L -> Reg lro=0 swapByteOffset=0 ti=16 vIdx=0 rIdx=0 oIdx=0 buffer=0 iui=0


/* local read b */


	;; [unrolled: 1-line block ×3, first 2 shown]
/* local read inc a */

s_mov_b32 s56, 0x80                                // inc
_v_add_co_u32 v[vgprLocalReadAddrA], vcc, s56, v[vgprLocalReadAddrA] // lrA += 128 (LSU*(MT+PAD)*bpe)


/* local read inc b */


s_waitcnt lgkmcnt(0)                               // lgkmcnt=0 vmcnt=-14wait for local read


v_mfma_f32_16x16x1_4b_f32 a[0+0:15+0], v[vgprValuA_X0_I0+0+0+0], v[vgprG2LB+2+0], a[0:15]


/* closeLoop loopL finalLoop=0 tailLoop=1 */
s_sub_i32 s[sgprLoopCounterL], s[sgprLoopCounterL], 0x1 // dec counterL (tailLoop)
s_add_u32 s[sgprOrigLoopCounter], s[sgprOrigLoopCounter], 0x1 // inc counterL
s_cmp_le_i32 s[sgprLoopCounterL], 0x0              // counterL<=0
s_cbranch_scc1 TailLoopEndL_7                      // exit LoopL


/* tail loop unroll iter 3 */


/* local read a */

_ds_load_b32 v[vgprValuA_X1_I0+0], v[vgprLocalReadAddrA] offset:0 // L -> Reg lro=0 swapByteOffset=0 ti=16 vIdx=0 rIdx=0 oIdx=0 buffer=1 iui=0


/* local read b */


	;; [unrolled: 1-line block ×3, first 2 shown]
/* local read inc a */

s_mov_b32 s56, 0x80                                // inc
_v_add_co_u32 v[vgprLocalReadAddrA], vcc, s56, v[vgprLocalReadAddrA] // lrA += 128 (LSU*(MT+PAD)*bpe)


/* local read inc b */


s_waitcnt lgkmcnt(0)                               // lgkmcnt=0 vmcnt=-14wait for local read


v_mfma_f32_16x16x1_4b_f32 a[0+0:15+0], v[vgprValuA_X1_I0+0+0+0], v[vgprG2LB+3+0], a[0:15]


/* closeLoop loopL finalLoop=0 tailLoop=1 */
s_sub_i32 s[sgprLoopCounterL], s[sgprLoopCounterL], 0x1 // dec counterL (tailLoop)
s_add_u32 s[sgprOrigLoopCounter], s[sgprOrigLoopCounter], 0x1 // inc counterL
s_cmp_le_i32 s[sgprLoopCounterL], 0x0              // counterL<=0
s_cbranch_scc1 TailLoopEndL_7                      // exit LoopL


/* tail loop unroll iter 4 */


/* local read a */

_ds_load_b32 v[vgprValuA_X0_I0+0], v[vgprLocalReadAddrA] offset:0 // L -> Reg lro=0 swapByteOffset=0 ti=16 vIdx=0 rIdx=0 oIdx=0 buffer=0 iui=0


/* local read b */



/* local read inc a */

s_mov_b32 s56, 0x80                                // inc
_v_add_co_u32 v[vgprLocalReadAddrA], vcc, s56, v[vgprLocalReadAddrA] // lrA += 128 (LSU*(MT+PAD)*bpe)


/* local read inc b */


s_waitcnt lgkmcnt(0)                               // lgkmcnt=0 vmcnt=-14wait for local read


v_mfma_f32_16x16x1_4b_f32 a[0+0:15+0], v[vgprValuA_X0_I0+0+0+0], v[vgprG2LB+4+0], a[0:15]


/* closeLoop loopL finalLoop=0 tailLoop=1 */
s_sub_i32 s[sgprLoopCounterL], s[sgprLoopCounterL], 0x1 // dec counterL (tailLoop)
s_add_u32 s[sgprOrigLoopCounter], s[sgprOrigLoopCounter], 0x1 // inc counterL
s_cmp_le_i32 s[sgprLoopCounterL], 0x0              // counterL<=0
s_cbranch_scc1 TailLoopEndL_7                      // exit LoopL


/* tail loop unroll iter 5 */


/* local read a */

_ds_load_b32 v[vgprValuA_X1_I0+0], v[vgprLocalReadAddrA] offset:0 // L -> Reg lro=0 swapByteOffset=0 ti=16 vIdx=0 rIdx=0 oIdx=0 buffer=1 iui=0


/* local read b */


	;; [unrolled: 1-line block ×3, first 2 shown]
/* local read inc a */

s_mov_b32 s56, 0x80                                // inc
_v_add_co_u32 v[vgprLocalReadAddrA], vcc, s56, v[vgprLocalReadAddrA] // lrA += 128 (LSU*(MT+PAD)*bpe)


/* local read inc b */


s_waitcnt lgkmcnt(0)                               // lgkmcnt=0 vmcnt=-14wait for local read


v_mfma_f32_16x16x1_4b_f32 a[0+0:15+0], v[vgprValuA_X1_I0+0+0+0], v[vgprG2LB+5+0], a[0:15]


/* closeLoop loopL finalLoop=0 tailLoop=1 */
s_sub_i32 s[sgprLoopCounterL], s[sgprLoopCounterL], 0x1 // dec counterL (tailLoop)
s_add_u32 s[sgprOrigLoopCounter], s[sgprOrigLoopCounter], 0x1 // inc counterL
s_cmp_le_i32 s[sgprLoopCounterL], 0x0              // counterL<=0
s_cbranch_scc1 TailLoopEndL_7                      // exit LoopL


/* tail loop unroll iter 6 */


/* local read a */

_ds_load_b32 v[vgprValuA_X0_I0+0], v[vgprLocalReadAddrA] offset:0 // L -> Reg lro=0 swapByteOffset=0 ti=16 vIdx=0 rIdx=0 oIdx=0 buffer=0 iui=0


/* local read b */


	;; [unrolled: 1-line block ×3, first 2 shown]
/* local read inc a */

s_mov_b32 s56, 0x80                                // inc
_v_add_co_u32 v[vgprLocalReadAddrA], vcc, s56, v[vgprLocalReadAddrA] // lrA += 128 (LSU*(MT+PAD)*bpe)


/* local read inc b */


s_waitcnt lgkmcnt(0)                               // lgkmcnt=0 vmcnt=-14wait for local read


v_mfma_f32_16x16x1_4b_f32 a[0+0:15+0], v[vgprValuA_X0_I0+0+0+0], v[vgprG2LB+6+0], a[0:15]


/* closeLoop loopL finalLoop=0 tailLoop=1 */
s_sub_i32 s[sgprLoopCounterL], s[sgprLoopCounterL], 0x1 // dec counterL (tailLoop)
s_add_u32 s[sgprOrigLoopCounter], s[sgprOrigLoopCounter], 0x1 // inc counterL
s_cmp_le_i32 s[sgprLoopCounterL], 0x0              // counterL<=0
s_cbranch_scc1 TailLoopEndL_7                      // exit LoopL


/* tail loop unroll iter 7 */


/* local read a */

_ds_load_b32 v[vgprValuA_X1_I0+0], v[vgprLocalReadAddrA] offset:0 // L -> Reg lro=0 swapByteOffset=0 ti=16 vIdx=0 rIdx=0 oIdx=0 buffer=1 iui=0


/* local read b */


	;; [unrolled: 1-line block ×3, first 2 shown]
/* local read inc a */

s_mov_b32 s56, 0x80                                // inc
_v_add_co_u32 v[vgprLocalReadAddrA], vcc, s56, v[vgprLocalReadAddrA] // lrA += 128 (LSU*(MT+PAD)*bpe)


/* local read inc b */


s_waitcnt lgkmcnt(0)                               // lgkmcnt=0 vmcnt=-14wait for local read


v_mfma_f32_16x16x1_4b_f32 a[0+0:15+0], v[vgprValuA_X1_I0+0+0+0], v[vgprG2LB+7+0], a[0:15]


/* closeLoop loopL finalLoop=0 tailLoop=1 */
s_sub_i32 s[sgprLoopCounterL], s[sgprLoopCounterL], 0x1 // dec counterL (tailLoop)
s_add_u32 s[sgprOrigLoopCounter], s[sgprOrigLoopCounter], 0x1 // inc counterL
s_cmp_le_i32 s[sgprLoopCounterL], 0x0              // counterL<=0
s_cbranch_scc1 TailLoopEndL_7                      // exit LoopL


/* tail loop unroll iter 8 */


/* local read a */

_ds_load_b32 v[vgprValuA_X0_I0+0], v[vgprLocalReadAddrA] offset:0 // L -> Reg lro=0 swapByteOffset=0 ti=16 vIdx=0 rIdx=0 oIdx=0 buffer=0 iui=0


/* local read b */


	;; [unrolled: 1-line block ×3, first 2 shown]
/* local read inc a */

s_mov_b32 s56, 0x80                                // inc
_v_add_co_u32 v[vgprLocalReadAddrA], vcc, s56, v[vgprLocalReadAddrA] // lrA += 128 (LSU*(MT+PAD)*bpe)


/* local read inc b */


s_waitcnt lgkmcnt(0)                               // lgkmcnt=0 vmcnt=-14wait for local read


v_mfma_f32_16x16x1_4b_f32 a[0+0:15+0], v[vgprValuA_X0_I0+0+0+0], v[vgprG2LB+8+0], a[0:15]


/* closeLoop loopL finalLoop=0 tailLoop=1 */
s_sub_i32 s[sgprLoopCounterL], s[sgprLoopCounterL], 0x1 // dec counterL (tailLoop)
s_add_u32 s[sgprOrigLoopCounter], s[sgprOrigLoopCounter], 0x1 // inc counterL
s_cmp_le_i32 s[sgprLoopCounterL], 0x0              // counterL<=0
s_cbranch_scc1 TailLoopEndL_7                      // exit LoopL


/* tail loop unroll iter 9 */


/* local read a */

_ds_load_b32 v[vgprValuA_X1_I0+0], v[vgprLocalReadAddrA] offset:0 // L -> Reg lro=0 swapByteOffset=0 ti=16 vIdx=0 rIdx=0 oIdx=0 buffer=1 iui=0


/* local read b */


	;; [unrolled: 1-line block ×3, first 2 shown]
/* local read inc a */

s_mov_b32 s56, 0x80                                // inc
_v_add_co_u32 v[vgprLocalReadAddrA], vcc, s56, v[vgprLocalReadAddrA] // lrA += 128 (LSU*(MT+PAD)*bpe)


/* local read inc b */


s_waitcnt lgkmcnt(0)                               // lgkmcnt=0 vmcnt=-14wait for local read


v_mfma_f32_16x16x1_4b_f32 a[0+0:15+0], v[vgprValuA_X1_I0+0+0+0], v[vgprG2LB+9+0], a[0:15]


/* closeLoop loopL finalLoop=0 tailLoop=1 */
s_sub_i32 s[sgprLoopCounterL], s[sgprLoopCounterL], 0x1 // dec counterL (tailLoop)
s_add_u32 s[sgprOrigLoopCounter], s[sgprOrigLoopCounter], 0x1 // inc counterL
s_cmp_le_i32 s[sgprLoopCounterL], 0x0              // counterL<=0
s_cbranch_scc1 TailLoopEndL_7                      // exit LoopL


/* tail loop unroll iter 10 */


/* local read a */

_ds_load_b32 v[vgprValuA_X0_I0+0], v[vgprLocalReadAddrA] offset:0 // L -> Reg lro=0 swapByteOffset=0 ti=16 vIdx=0 rIdx=0 oIdx=0 buffer=0 iui=0


/* local read b */


	;; [unrolled: 1-line block ×3, first 2 shown]
/* local read inc a */

s_mov_b32 s56, 0x80                                // inc
_v_add_co_u32 v[vgprLocalReadAddrA], vcc, s56, v[vgprLocalReadAddrA] // lrA += 128 (LSU*(MT+PAD)*bpe)


/* local read inc b */


s_waitcnt lgkmcnt(0)                               // lgkmcnt=0 vmcnt=-14wait for local read


v_mfma_f32_16x16x1_4b_f32 a[0+0:15+0], v[vgprValuA_X0_I0+0+0+0], v[vgprG2LB+10+0], a[0:15]


/* closeLoop loopL finalLoop=0 tailLoop=1 */
s_sub_i32 s[sgprLoopCounterL], s[sgprLoopCounterL], 0x1 // dec counterL (tailLoop)
s_add_u32 s[sgprOrigLoopCounter], s[sgprOrigLoopCounter], 0x1 // inc counterL
s_cmp_le_i32 s[sgprLoopCounterL], 0x0              // counterL<=0
s_cbranch_scc1 TailLoopEndL_7                      // exit LoopL


/* tail loop unroll iter 11 */


/* local read a */

_ds_load_b32 v[vgprValuA_X1_I0+0], v[vgprLocalReadAddrA] offset:0 // L -> Reg lro=0 swapByteOffset=0 ti=16 vIdx=0 rIdx=0 oIdx=0 buffer=1 iui=0


/* local read b */


	;; [unrolled: 1-line block ×3, first 2 shown]
/* local read inc a */

s_mov_b32 s56, 0x80                                // inc
_v_add_co_u32 v[vgprLocalReadAddrA], vcc, s56, v[vgprLocalReadAddrA] // lrA += 128 (LSU*(MT+PAD)*bpe)


/* local read inc b */


s_waitcnt lgkmcnt(0)                               // lgkmcnt=0 vmcnt=-14wait for local read


v_mfma_f32_16x16x1_4b_f32 a[0+0:15+0], v[vgprValuA_X1_I0+0+0+0], v[vgprG2LB+11+0], a[0:15]


/* closeLoop loopL finalLoop=0 tailLoop=1 */
s_sub_i32 s[sgprLoopCounterL], s[sgprLoopCounterL], 0x1 // dec counterL (tailLoop)
s_add_u32 s[sgprOrigLoopCounter], s[sgprOrigLoopCounter], 0x1 // inc counterL
s_cmp_le_i32 s[sgprLoopCounterL], 0x0              // counterL<=0
s_cbranch_scc1 TailLoopEndL_7                      // exit LoopL


/* tail loop unroll iter 12 */


/* local read a */

_ds_load_b32 v[vgprValuA_X0_I0+0], v[vgprLocalReadAddrA] offset:0 // L -> Reg lro=0 swapByteOffset=0 ti=16 vIdx=0 rIdx=0 oIdx=0 buffer=0 iui=0


/* local read b */


	;; [unrolled: 1-line block ×3, first 2 shown]
/* local read inc a */

s_mov_b32 s56, 0x80                                // inc
_v_add_co_u32 v[vgprLocalReadAddrA], vcc, s56, v[vgprLocalReadAddrA] // lrA += 128 (LSU*(MT+PAD)*bpe)


/* local read inc b */


s_waitcnt lgkmcnt(0)                               // lgkmcnt=0 vmcnt=-14wait for local read


v_mfma_f32_16x16x1_4b_f32 a[0+0:15+0], v[vgprValuA_X0_I0+0+0+0], v[vgprG2LB+12+0], a[0:15]


/* closeLoop loopL finalLoop=0 tailLoop=1 */
s_sub_i32 s[sgprLoopCounterL], s[sgprLoopCounterL], 0x1 // dec counterL (tailLoop)
s_add_u32 s[sgprOrigLoopCounter], s[sgprOrigLoopCounter], 0x1 // inc counterL
s_cmp_le_i32 s[sgprLoopCounterL], 0x0              // counterL<=0
s_cbranch_scc1 TailLoopEndL_7                      // exit LoopL


/* tail loop unroll iter 13 */


/* local read a */

_ds_load_b32 v[vgprValuA_X1_I0+0], v[vgprLocalReadAddrA] offset:0 // L -> Reg lro=0 swapByteOffset=0 ti=16 vIdx=0 rIdx=0 oIdx=0 buffer=1 iui=0


/* local read b */



/* local read inc a */

s_mov_b32 s56, 0x80                                // inc
_v_add_co_u32 v[vgprLocalReadAddrA], vcc, s56, v[vgprLocalReadAddrA] // lrA += 128 (LSU*(MT+PAD)*bpe)


/* local read inc b */


s_waitcnt lgkmcnt(0)                               // lgkmcnt=0 vmcnt=-14wait for local read


v_mfma_f32_16x16x1_4b_f32 a[0+0:15+0], v[vgprValuA_X1_I0+0+0+0], v[vgprG2LB+13+0], a[0:15]


/* closeLoop loopL finalLoop=0 tailLoop=1 */
s_sub_i32 s[sgprLoopCounterL], s[sgprLoopCounterL], 0x1 // dec counterL (tailLoop)
s_add_u32 s[sgprOrigLoopCounter], s[sgprOrigLoopCounter], 0x1 // inc counterL
s_cmp_le_i32 s[sgprLoopCounterL], 0x0              // counterL<=0
s_cbranch_scc1 TailLoopEndL_7                      // exit LoopL


/* tail loop unroll iter 14 */


/* local read a */

_ds_load_b32 v[vgprValuA_X0_I0+0], v[vgprLocalReadAddrA] offset:0 // L -> Reg lro=0 swapByteOffset=0 ti=16 vIdx=0 rIdx=0 oIdx=0 buffer=0 iui=0


/* local read b */


	;; [unrolled: 1-line block ×3, first 2 shown]
/* local read inc a */

s_mov_b32 s56, 0x80                                // inc
_v_add_co_u32 v[vgprLocalReadAddrA], vcc, s56, v[vgprLocalReadAddrA] // lrA += 128 (LSU*(MT+PAD)*bpe)


/* local read inc b */


s_waitcnt lgkmcnt(0)                               // lgkmcnt=0 vmcnt=-14wait for local read


v_mfma_f32_16x16x1_4b_f32 a[0+0:15+0], v[vgprValuA_X0_I0+0+0+0], v[vgprG2LB+14+0], a[0:15]


/* closeLoop loopL finalLoop=0 tailLoop=1 */
s_sub_i32 s[sgprLoopCounterL], s[sgprLoopCounterL], 0x1 // dec counterL (tailLoop)
s_add_u32 s[sgprOrigLoopCounter], s[sgprOrigLoopCounter], 0x1 // inc counterL
s_cmp_le_i32 s[sgprLoopCounterL], 0x0              // counterL<=0
s_cbranch_scc1 TailLoopEndL_7                      // exit LoopL


/* tail loop unroll iter 15 */


/* local read a */

_ds_load_b32 v[vgprValuA_X1_I0+0], v[vgprLocalReadAddrA] offset:0 // L -> Reg lro=0 swapByteOffset=0 ti=16 vIdx=0 rIdx=0 oIdx=0 buffer=1 iui=0


/* local read b */


	;; [unrolled: 1-line block ×3, first 2 shown]
/* local read inc a */

s_mov_b32 s56, 0x80                                // inc
_v_add_co_u32 v[vgprLocalReadAddrA], vcc, s56, v[vgprLocalReadAddrA] // lrA += 128 (LSU*(MT+PAD)*bpe)


/* local read inc b */


s_waitcnt lgkmcnt(0)                               // lgkmcnt=0 vmcnt=-14wait for local read


v_mfma_f32_16x16x1_4b_f32 a[0+0:15+0], v[vgprValuA_X1_I0+0+0+0], v[vgprG2LB+15+0], a[0:15]


/* closeLoop loopL finalLoop=0 tailLoop=1 */
s_sub_i32 s[sgprLoopCounterL], s[sgprLoopCounterL], 0x1 // dec counterL (tailLoop)
s_add_u32 s[sgprOrigLoopCounter], s[sgprOrigLoopCounter], 0x1 // inc counterL
s_cmp_le_i32 s[sgprLoopCounterL], 0x0              // counterL<=0
s_cbranch_scc1 TailLoopEndL_7                      // exit LoopL


/* tail loop unroll iter 16 */


/* local read a */

_ds_load_b32 v[vgprValuA_X0_I0+0], v[vgprLocalReadAddrA] offset:0 // L -> Reg lro=0 swapByteOffset=0 ti=16 vIdx=0 rIdx=0 oIdx=0 buffer=0 iui=0


/* local read b */



/* local read inc a */

s_mov_b32 s56, 0x80                                // inc
_v_add_co_u32 v[vgprLocalReadAddrA], vcc, s56, v[vgprLocalReadAddrA] // lrA += 128 (LSU*(MT+PAD)*bpe)


/* local read inc b */


s_waitcnt lgkmcnt(0)                               // lgkmcnt=0 vmcnt=-14wait for local read


v_mfma_f32_16x16x1_4b_f32 a[0+0:15+0], v[vgprValuA_X0_I0+0+0+0], v[vgprG2LB+16+0], a[0:15]


/* closeLoop loopL finalLoop=0 tailLoop=1 */
s_sub_i32 s[sgprLoopCounterL], s[sgprLoopCounterL], 0x1 // dec counterL (tailLoop)
s_add_u32 s[sgprOrigLoopCounter], s[sgprOrigLoopCounter], 0x1 // inc counterL
s_cmp_le_i32 s[sgprLoopCounterL], 0x0              // counterL<=0
s_cbranch_scc1 TailLoopEndL_7                      // exit LoopL


/* tail loop unroll iter 17 */


/* local read a */

_ds_load_b32 v[vgprValuA_X1_I0+0], v[vgprLocalReadAddrA] offset:0 // L -> Reg lro=0 swapByteOffset=0 ti=16 vIdx=0 rIdx=0 oIdx=0 buffer=1 iui=0


/* local read b */


	;; [unrolled: 1-line block ×3, first 2 shown]
/* local read inc a */

s_mov_b32 s56, 0x80                                // inc
_v_add_co_u32 v[vgprLocalReadAddrA], vcc, s56, v[vgprLocalReadAddrA] // lrA += 128 (LSU*(MT+PAD)*bpe)


/* local read inc b */


s_waitcnt lgkmcnt(0)                               // lgkmcnt=0 vmcnt=-14wait for local read


v_mfma_f32_16x16x1_4b_f32 a[0+0:15+0], v[vgprValuA_X1_I0+0+0+0], v[vgprG2LB+17+0], a[0:15]


/* closeLoop loopL finalLoop=0 tailLoop=1 */
s_sub_i32 s[sgprLoopCounterL], s[sgprLoopCounterL], 0x1 // dec counterL (tailLoop)
s_add_u32 s[sgprOrigLoopCounter], s[sgprOrigLoopCounter], 0x1 // inc counterL
s_cmp_le_i32 s[sgprLoopCounterL], 0x0              // counterL<=0
s_cbranch_scc1 TailLoopEndL_7                      // exit LoopL


/* tail loop unroll iter 18 */


/* local read a */

_ds_load_b32 v[vgprValuA_X0_I0+0], v[vgprLocalReadAddrA] offset:0 // L -> Reg lro=0 swapByteOffset=0 ti=16 vIdx=0 rIdx=0 oIdx=0 buffer=0 iui=0


/* local read b */


	;; [unrolled: 1-line block ×3, first 2 shown]
/* local read inc a */

s_mov_b32 s56, 0x80                                // inc
_v_add_co_u32 v[vgprLocalReadAddrA], vcc, s56, v[vgprLocalReadAddrA] // lrA += 128 (LSU*(MT+PAD)*bpe)


/* local read inc b */


s_waitcnt lgkmcnt(0)                               // lgkmcnt=0 vmcnt=-14wait for local read


v_mfma_f32_16x16x1_4b_f32 a[0+0:15+0], v[vgprValuA_X0_I0+0+0+0], v[vgprG2LB+18+0], a[0:15]


/* closeLoop loopL finalLoop=0 tailLoop=1 */
s_sub_i32 s[sgprLoopCounterL], s[sgprLoopCounterL], 0x1 // dec counterL (tailLoop)
s_add_u32 s[sgprOrigLoopCounter], s[sgprOrigLoopCounter], 0x1 // inc counterL
s_cmp_le_i32 s[sgprLoopCounterL], 0x0              // counterL<=0
s_cbranch_scc1 TailLoopEndL_7                      // exit LoopL


/* tail loop unroll iter 19 */


/* local read a */

_ds_load_b32 v[vgprValuA_X1_I0+0], v[vgprLocalReadAddrA] offset:0 // L -> Reg lro=0 swapByteOffset=0 ti=16 vIdx=0 rIdx=0 oIdx=0 buffer=1 iui=0


/* local read b */


	;; [unrolled: 1-line block ×3, first 2 shown]
/* local read inc a */

s_mov_b32 s56, 0x80                                // inc
_v_add_co_u32 v[vgprLocalReadAddrA], vcc, s56, v[vgprLocalReadAddrA] // lrA += 128 (LSU*(MT+PAD)*bpe)


/* local read inc b */


s_waitcnt lgkmcnt(0)                               // lgkmcnt=0 vmcnt=-14wait for local read


v_mfma_f32_16x16x1_4b_f32 a[0+0:15+0], v[vgprValuA_X1_I0+0+0+0], v[vgprG2LB+19+0], a[0:15]


/* closeLoop loopL finalLoop=0 tailLoop=1 */
s_sub_i32 s[sgprLoopCounterL], s[sgprLoopCounterL], 0x1 // dec counterL (tailLoop)
s_add_u32 s[sgprOrigLoopCounter], s[sgprOrigLoopCounter], 0x1 // inc counterL
s_cmp_le_i32 s[sgprLoopCounterL], 0x0              // counterL<=0
s_cbranch_scc1 TailLoopEndL_7                      // exit LoopL


/* tail loop unroll iter 20 */


/* local read a */

_ds_load_b32 v[vgprValuA_X0_I0+0], v[vgprLocalReadAddrA] offset:0 // L -> Reg lro=0 swapByteOffset=0 ti=16 vIdx=0 rIdx=0 oIdx=0 buffer=0 iui=0


/* local read b */


	;; [unrolled: 1-line block ×3, first 2 shown]
/* local read inc a */

s_mov_b32 s56, 0x80                                // inc
_v_add_co_u32 v[vgprLocalReadAddrA], vcc, s56, v[vgprLocalReadAddrA] // lrA += 128 (LSU*(MT+PAD)*bpe)


/* local read inc b */


s_waitcnt lgkmcnt(0)                               // lgkmcnt=0 vmcnt=-14wait for local read


v_mfma_f32_16x16x1_4b_f32 a[0+0:15+0], v[vgprValuA_X0_I0+0+0+0], v[vgprG2LB+20+0], a[0:15]


/* closeLoop loopL finalLoop=0 tailLoop=1 */
s_sub_i32 s[sgprLoopCounterL], s[sgprLoopCounterL], 0x1 // dec counterL (tailLoop)
s_add_u32 s[sgprOrigLoopCounter], s[sgprOrigLoopCounter], 0x1 // inc counterL
s_cmp_le_i32 s[sgprLoopCounterL], 0x0              // counterL<=0
s_cbranch_scc1 TailLoopEndL_7                      // exit LoopL


/* tail loop unroll iter 21 */


/* local read a */

_ds_load_b32 v[vgprValuA_X1_I0+0], v[vgprLocalReadAddrA] offset:0 // L -> Reg lro=0 swapByteOffset=0 ti=16 vIdx=0 rIdx=0 oIdx=0 buffer=1 iui=0


/* local read b */


	;; [unrolled: 1-line block ×3, first 2 shown]
/* local read inc a */

s_mov_b32 s56, 0x80                                // inc
_v_add_co_u32 v[vgprLocalReadAddrA], vcc, s56, v[vgprLocalReadAddrA] // lrA += 128 (LSU*(MT+PAD)*bpe)


/* local read inc b */


s_waitcnt lgkmcnt(0)                               // lgkmcnt=0 vmcnt=-14wait for local read


v_mfma_f32_16x16x1_4b_f32 a[0+0:15+0], v[vgprValuA_X1_I0+0+0+0], v[vgprG2LB+21+0], a[0:15]


/* closeLoop loopL finalLoop=0 tailLoop=1 */
s_sub_i32 s[sgprLoopCounterL], s[sgprLoopCounterL], 0x1 // dec counterL (tailLoop)
s_add_u32 s[sgprOrigLoopCounter], s[sgprOrigLoopCounter], 0x1 // inc counterL
s_cmp_le_i32 s[sgprLoopCounterL], 0x0              // counterL<=0
s_cbranch_scc1 TailLoopEndL_7                      // exit LoopL


/* tail loop unroll iter 22 */


/* local read a */

_ds_load_b32 v[vgprValuA_X0_I0+0], v[vgprLocalReadAddrA] offset:0 // L -> Reg lro=0 swapByteOffset=0 ti=16 vIdx=0 rIdx=0 oIdx=0 buffer=0 iui=0


/* local read b */


	;; [unrolled: 1-line block ×3, first 2 shown]
/* local read inc a */

s_mov_b32 s56, 0x80                                // inc
_v_add_co_u32 v[vgprLocalReadAddrA], vcc, s56, v[vgprLocalReadAddrA] // lrA += 128 (LSU*(MT+PAD)*bpe)


/* local read inc b */


s_waitcnt lgkmcnt(0)                               // lgkmcnt=0 vmcnt=-14wait for local read


v_mfma_f32_16x16x1_4b_f32 a[0+0:15+0], v[vgprValuA_X0_I0+0+0+0], v[vgprG2LB+22+0], a[0:15]


/* closeLoop loopL finalLoop=0 tailLoop=1 */
s_sub_i32 s[sgprLoopCounterL], s[sgprLoopCounterL], 0x1 // dec counterL (tailLoop)
s_add_u32 s[sgprOrigLoopCounter], s[sgprOrigLoopCounter], 0x1 // inc counterL
s_cmp_le_i32 s[sgprLoopCounterL], 0x0              // counterL<=0
s_cbranch_scc1 TailLoopEndL_7                      // exit LoopL


/* tail loop unroll iter 23 */


/* local read a */

_ds_load_b32 v[vgprValuA_X1_I0+0], v[vgprLocalReadAddrA] offset:0 // L -> Reg lro=0 swapByteOffset=0 ti=16 vIdx=0 rIdx=0 oIdx=0 buffer=1 iui=0


/* local read b */



/* local read inc a */

s_mov_b32 s56, 0x80                                // inc
_v_add_co_u32 v[vgprLocalReadAddrA], vcc, s56, v[vgprLocalReadAddrA] // lrA += 128 (LSU*(MT+PAD)*bpe)


/* local read inc b */


s_waitcnt lgkmcnt(0)                               // lgkmcnt=0 vmcnt=-14wait for local read


v_mfma_f32_16x16x1_4b_f32 a[0+0:15+0], v[vgprValuA_X1_I0+0+0+0], v[vgprG2LB+23+0], a[0:15]


/* closeLoop loopL finalLoop=0 tailLoop=1 */
s_sub_i32 s[sgprLoopCounterL], s[sgprLoopCounterL], 0x1 // dec counterL (tailLoop)
s_add_u32 s[sgprOrigLoopCounter], s[sgprOrigLoopCounter], 0x1 // inc counterL
s_cmp_le_i32 s[sgprLoopCounterL], 0x0              // counterL<=0
s_cbranch_scc1 TailLoopEndL_7                      // exit LoopL


/* tail loop unroll iter 24 */


/* local read a */

_ds_load_b32 v[vgprValuA_X0_I0+0], v[vgprLocalReadAddrA] offset:0 // L -> Reg lro=0 swapByteOffset=0 ti=16 vIdx=0 rIdx=0 oIdx=0 buffer=0 iui=0


/* local read b */


	;; [unrolled: 1-line block ×3, first 2 shown]
/* local read inc a */

s_mov_b32 s56, 0x80                                // inc
_v_add_co_u32 v[vgprLocalReadAddrA], vcc, s56, v[vgprLocalReadAddrA] // lrA += 128 (LSU*(MT+PAD)*bpe)


/* local read inc b */


s_waitcnt lgkmcnt(0)                               // lgkmcnt=0 vmcnt=-14wait for local read


v_mfma_f32_16x16x1_4b_f32 a[0+0:15+0], v[vgprValuA_X0_I0+0+0+0], v[vgprG2LB+24+0], a[0:15]


/* closeLoop loopL finalLoop=0 tailLoop=1 */
s_sub_i32 s[sgprLoopCounterL], s[sgprLoopCounterL], 0x1 // dec counterL (tailLoop)
s_add_u32 s[sgprOrigLoopCounter], s[sgprOrigLoopCounter], 0x1 // inc counterL
s_cmp_le_i32 s[sgprLoopCounterL], 0x0              // counterL<=0
s_cbranch_scc1 TailLoopEndL_7                      // exit LoopL


/* tail loop unroll iter 25 */


/* local read a */

_ds_load_b32 v[vgprValuA_X1_I0+0], v[vgprLocalReadAddrA] offset:0 // L -> Reg lro=0 swapByteOffset=0 ti=16 vIdx=0 rIdx=0 oIdx=0 buffer=1 iui=0


/* local read b */


	;; [unrolled: 1-line block ×3, first 2 shown]
/* local read inc a */

s_mov_b32 s56, 0x80                                // inc
_v_add_co_u32 v[vgprLocalReadAddrA], vcc, s56, v[vgprLocalReadAddrA] // lrA += 128 (LSU*(MT+PAD)*bpe)


/* local read inc b */


s_waitcnt lgkmcnt(0)                               // lgkmcnt=0 vmcnt=-14wait for local read


v_mfma_f32_16x16x1_4b_f32 a[0+0:15+0], v[vgprValuA_X1_I0+0+0+0], v[vgprG2LB+25+0], a[0:15]


/* closeLoop loopL finalLoop=0 tailLoop=1 */
s_sub_i32 s[sgprLoopCounterL], s[sgprLoopCounterL], 0x1 // dec counterL (tailLoop)
s_add_u32 s[sgprOrigLoopCounter], s[sgprOrigLoopCounter], 0x1 // inc counterL
s_cmp_le_i32 s[sgprLoopCounterL], 0x0              // counterL<=0
s_cbranch_scc1 TailLoopEndL_7                      // exit LoopL


/* tail loop unroll iter 26 */


/* local read a */

_ds_load_b32 v[vgprValuA_X0_I0+0], v[vgprLocalReadAddrA] offset:0 // L -> Reg lro=0 swapByteOffset=0 ti=16 vIdx=0 rIdx=0 oIdx=0 buffer=0 iui=0


/* local read b */


	;; [unrolled: 1-line block ×3, first 2 shown]
/* local read inc a */

s_mov_b32 s56, 0x80                                // inc
_v_add_co_u32 v[vgprLocalReadAddrA], vcc, s56, v[vgprLocalReadAddrA] // lrA += 128 (LSU*(MT+PAD)*bpe)


/* local read inc b */


s_waitcnt lgkmcnt(0)                               // lgkmcnt=0 vmcnt=-14wait for local read


v_mfma_f32_16x16x1_4b_f32 a[0+0:15+0], v[vgprValuA_X0_I0+0+0+0], v[vgprG2LB+26+0], a[0:15]


/* closeLoop loopL finalLoop=0 tailLoop=1 */
s_sub_i32 s[sgprLoopCounterL], s[sgprLoopCounterL], 0x1 // dec counterL (tailLoop)
s_add_u32 s[sgprOrigLoopCounter], s[sgprOrigLoopCounter], 0x1 // inc counterL
s_cmp_le_i32 s[sgprLoopCounterL], 0x0              // counterL<=0
s_cbranch_scc1 TailLoopEndL_7                      // exit LoopL


/* tail loop unroll iter 27 */


/* local read a */

_ds_load_b32 v[vgprValuA_X1_I0+0], v[vgprLocalReadAddrA] offset:0 // L -> Reg lro=0 swapByteOffset=0 ti=16 vIdx=0 rIdx=0 oIdx=0 buffer=1 iui=0


/* local read b */


	;; [unrolled: 1-line block ×3, first 2 shown]
/* local read inc a */

s_mov_b32 s56, 0x80                                // inc
_v_add_co_u32 v[vgprLocalReadAddrA], vcc, s56, v[vgprLocalReadAddrA] // lrA += 128 (LSU*(MT+PAD)*bpe)


/* local read inc b */


s_waitcnt lgkmcnt(0)                               // lgkmcnt=0 vmcnt=-14wait for local read


v_mfma_f32_16x16x1_4b_f32 a[0+0:15+0], v[vgprValuA_X1_I0+0+0+0], v[vgprG2LB+27+0], a[0:15]


/* closeLoop loopL finalLoop=0 tailLoop=1 */
s_sub_i32 s[sgprLoopCounterL], s[sgprLoopCounterL], 0x1 // dec counterL (tailLoop)
s_add_u32 s[sgprOrigLoopCounter], s[sgprOrigLoopCounter], 0x1 // inc counterL
s_cmp_le_i32 s[sgprLoopCounterL], 0x0              // counterL<=0
s_cbranch_scc1 TailLoopEndL_7                      // exit LoopL


/* tail loop unroll iter 28 */


/* local read a */

_ds_load_b32 v[vgprValuA_X0_I0+0], v[vgprLocalReadAddrA] offset:0 // L -> Reg lro=0 swapByteOffset=0 ti=16 vIdx=0 rIdx=0 oIdx=0 buffer=0 iui=0


/* local read b */


	;; [unrolled: 1-line block ×3, first 2 shown]
/* local read inc a */

s_mov_b32 s56, 0x80                                // inc
_v_add_co_u32 v[vgprLocalReadAddrA], vcc, s56, v[vgprLocalReadAddrA] // lrA += 128 (LSU*(MT+PAD)*bpe)


/* local read inc b */


s_waitcnt lgkmcnt(0)                               // lgkmcnt=0 vmcnt=-14wait for local read


v_mfma_f32_16x16x1_4b_f32 a[0+0:15+0], v[vgprValuA_X0_I0+0+0+0], v[vgprG2LB+28+0], a[0:15]


/* closeLoop loopL finalLoop=0 tailLoop=1 */
s_sub_i32 s[sgprLoopCounterL], s[sgprLoopCounterL], 0x1 // dec counterL (tailLoop)
s_add_u32 s[sgprOrigLoopCounter], s[sgprOrigLoopCounter], 0x1 // inc counterL
s_cmp_le_i32 s[sgprLoopCounterL], 0x0              // counterL<=0
s_cbranch_scc1 TailLoopEndL_7                      // exit LoopL


/* tail loop unroll iter 29 */


/* local read a */

_ds_load_b32 v[vgprValuA_X1_I0+0], v[vgprLocalReadAddrA] offset:0 // L -> Reg lro=0 swapByteOffset=0 ti=16 vIdx=0 rIdx=0 oIdx=0 buffer=1 iui=0


/* local read b */



/* local read inc a */

s_mov_b32 s56, 0x80                                // inc
_v_add_co_u32 v[vgprLocalReadAddrA], vcc, s56, v[vgprLocalReadAddrA] // lrA += 128 (LSU*(MT+PAD)*bpe)


/* local read inc b */


s_waitcnt lgkmcnt(0)                               // lgkmcnt=0 vmcnt=-14wait for local read


v_mfma_f32_16x16x1_4b_f32 a[0+0:15+0], v[vgprValuA_X1_I0+0+0+0], v[vgprG2LB+29+0], a[0:15]


/* closeLoop loopL finalLoop=0 tailLoop=1 */
s_sub_i32 s[sgprLoopCounterL], s[sgprLoopCounterL], 0x1 // dec counterL (tailLoop)
s_add_u32 s[sgprOrigLoopCounter], s[sgprOrigLoopCounter], 0x1 // inc counterL
s_cmp_le_i32 s[sgprLoopCounterL], 0x0              // counterL<=0
s_cbranch_scc1 TailLoopEndL_7                      // exit LoopL


/* tail loop unroll iter 30 */


/* local read a */

_ds_load_b32 v[vgprValuA_X0_I0+0], v[vgprLocalReadAddrA] offset:0 // L -> Reg lro=0 swapByteOffset=0 ti=16 vIdx=0 rIdx=0 oIdx=0 buffer=0 iui=0


/* local read b */


	;; [unrolled: 1-line block ×3, first 2 shown]
/* local read inc a */

s_mov_b32 s56, 0x80                                // inc
_v_add_co_u32 v[vgprLocalReadAddrA], vcc, s56, v[vgprLocalReadAddrA] // lrA += 128 (LSU*(MT+PAD)*bpe)


/* local read inc b */


s_waitcnt lgkmcnt(0)                               // lgkmcnt=0 vmcnt=-14wait for local read


v_mfma_f32_16x16x1_4b_f32 a[0+0:15+0], v[vgprValuA_X0_I0+0+0+0], v[vgprG2LB+30+0], a[0:15]


/* closeLoop loopL finalLoop=0 tailLoop=1 */
s_sub_i32 s[sgprLoopCounterL], s[sgprLoopCounterL], 0x1 // dec counterL (tailLoop)
s_add_u32 s[sgprOrigLoopCounter], s[sgprOrigLoopCounter], 0x1 // inc counterL
s_cmp_le_i32 s[sgprLoopCounterL], 0x0              // counterL<=0
s_cbranch_scc1 TailLoopEndL_7                      // exit LoopL


/* tail loop unroll iter 31 */


/* local read a */

_ds_load_b32 v[vgprValuA_X1_I0+0], v[vgprLocalReadAddrA] offset:0 // L -> Reg lro=0 swapByteOffset=0 ti=16 vIdx=0 rIdx=0 oIdx=0 buffer=1 iui=0


/* local read b */


	;; [unrolled: 1-line block ×3, first 2 shown]
/* local read inc a */

s_mov_b32 s56, 0x80                                // inc
_v_add_co_u32 v[vgprLocalReadAddrA], vcc, s56, v[vgprLocalReadAddrA] // lrA += 128 (LSU*(MT+PAD)*bpe)


/* local read inc b */


s_waitcnt lgkmcnt(0)                               // lgkmcnt=0 vmcnt=-14wait for local read


v_mfma_f32_16x16x1_4b_f32 a[0+0:15+0], v[vgprValuA_X1_I0+0+0+0], v[vgprG2LB+31+0], a[0:15]


/* closeLoop loopL finalLoop=1 tailLoop=1 */
s_sub_i32 s[sgprLoopCounterL], s[sgprLoopCounterL], 0x1 // dec counterL (tailLoop)
s_add_u32 s[sgprOrigLoopCounter], s[sgprOrigLoopCounter], 0x1 // inc counterL
s_cmp_le_i32 s[sgprLoopCounterL], 0x0              // counterL<=0
s_cbranch_scc0 TailLoopBeginL_6                    // restart LoopL
TailLoopEndL_7:

SkipTailLoopL_8:

Summation_End_36:
/* endSummation: add vgpr [0...104) to pool */
.set NumFullBlocks, UNDEF
.set WgmRemainder1, UNDEF
.set MagicNumberWgmRemainder1, UNDEF

/* Mapping of Acc register -> C Vgpr register */


	;; [unrolled: 1-line block ×3, first 2 shown]
/* not-LocalSplitU: global write indices */

/* computeStoreVgprs */
v_lshrrev_b32 v4, 6, v[vgprSerial]                 // v4 = v[vgprSerial] / 64
v_lshrrev_b32 v1, 0, v4                            // v1 = v4 / 1
v_mul_lo_u32 v1, 0x40, v1                          // wave coordination offset 1
v_and_b32 v5, 15, v[vgprSerial]                    // v5 = v[vgprSerial] % 16
_v_add_lshl_u32 v1, v5, v1, 0                      // coordination 1 = vwb *(wave_id1 + tid1)
v_mul_lo_u32 v2, v1, s[sgprStrideC1J]              //  offset 1
v_mul_lo_u32 v3, v1, s[sgprStrideD1J]              //  offset 1
v_and_b32 v0, 63, v[vgprSerial]                    // v0 = v[vgprSerial] % 64
v_lshrrev_b32 v0, 4, v0                            // v0 = v0 / 16
v_lshlrev_b32 v0, 0x2, v0                          // thread0 * continuous_output
v_and_b32 v5, 0, v4                                // v5 = v4 % 1
v_mul_lo_u32 v5, 0x10, v5                          // wave coordination offset 0
_v_add_lshl_u32 v0, v5, v0, 0                      // coordination 0 = vwa *(wave_id0 + tid0)
s_mul_i32 s53, 16, s[sgprWorkGroup0]               // wgp0 * MT0
_v_add_u32 v0, s53, v0                             // coord 0 = (tid0/MI_m)*4 + waveG0*MIB_m + MT0*SG0
s_mul_i32 s53, 256, s[sgprWorkGroup1]              // wgp1 * MT1
_v_add_u32 v1, s53, v1                             // coord 1 = (tid0%MI_m) + waveG1*MIB_n + MT1*SG1


/* not-LocalSplitU: global write */

s_cmpk_eq_u32 s[sgprBeta], 0x0                     // Beta == 0
s_cbranch_scc0 GW_Beta_51                          // Branch if Beta is not zero

s_and_b32 s54, 15, s[sgprSizeI]                    // s54 = s[sgprSizeI] % 16
s_add_u32 s55, -0x1, s[sgprNumWorkGroups0]         // 
s_cmp_ge_u32 s[sgprWorkGroup0], s55                // wg0 >= nwg0-1 ?
s_cselect_b32 s54, s54, 0                          // set rMT0
s_cmpk_gt_u32 s54, 0x0                             // rMT0 > 0
s_cbranch_scc1 GW_B0_E1_42                         // jump if edges required
s_and_b32 s54, 255, s[sgprSizeJ]                   // s54 = s[sgprSizeJ] % 256
s_add_u32 s55, -0x1, s[sgprNumWorkGroups1]         // 
s_cmp_ge_u32 s[sgprWorkGroup1], s55                // wg1 >= nwg1-1
s_cselect_b32 s54, s54, 0                          // set rMT1
s_cmpk_gt_u32 s54, 0x0                             // rMT1 > 0
s_cbranch_scc1 GW_B0_E1_42                         // jump if edges required
GW_B0_E0_39:

/* edge=0, allocate 2 sgpr. perBatchTmpS=2 perBatchMaskS=0 perElementMaskS=0 elementsPerBatch=35 */
/* optSingleColVgpr=1 optSharedColVgpr=0 optSGPRUsage=BufferLoad_Mask optSrdIncForRow=1 */

/******************************************/
/* Global Write Alpha Batch #0 (d1,d0,vc1,vc0) = */
/*    (0,0,0,0:vw4); (1,0,0,0:vw4); (2,0,0,0:vw4); (3,0,0,0:vw4) */
/******************************************/

/* calc coords, apply mask, and issue loads (if necessary) */
/* (d1,vc1,d0,vc0)=(0,0,0,0) */
/* (d1,vc1,d0,vc0)=(1,0,0,0) */
	;; [unrolled: 1-line block ×4, first 2 shown]
_v_add_lshl_u32 v6, v3, v0, 0x2                    // optSingleColVgpr scaleToBpe: sharedAddrVgpr <- cinRowPtr + coord0, scaled by BPE. BSHERE:coord0=0, coord0Vgpr=0
v_accvgpr_read_b32 v[vgprValuC+8], acc0 // copy acc to vreg[0]
v_accvgpr_read_b32 v[vgprValuC+9], acc1 // copy acc to vreg[1]
v_accvgpr_read_b32 v[vgprValuC+10], acc2 // copy acc to vreg[2]
v_accvgpr_read_b32 v[vgprValuC+11], acc3 // copy acc to vreg[3]
v_accvgpr_read_b32 v[vgprValuC+12], acc4 // copy acc to vreg[4]
v_accvgpr_read_b32 v[vgprValuC+13], acc5 // copy acc to vreg[5]
v_accvgpr_read_b32 v[vgprValuC+14], acc6 // copy acc to vreg[6]
v_accvgpr_read_b32 v[vgprValuC+15], acc7 // copy acc to vreg[7]
v_accvgpr_read_b32 v[vgprValuC+16], acc8 // copy acc to vreg[8]
v_accvgpr_read_b32 v[vgprValuC+17], acc9 // copy acc to vreg[9]
v_accvgpr_read_b32 v[vgprValuC+18], acc10 // copy acc to vreg[10]
v_accvgpr_read_b32 v[vgprValuC+19], acc11 // copy acc to vreg[11]
v_accvgpr_read_b32 v[vgprValuC+20], acc12 // copy acc to vreg[12]
v_accvgpr_read_b32 v[vgprValuC+21], acc13 // copy acc to vreg[13]
v_accvgpr_read_b32 v[vgprValuC+22], acc14 // copy acc to vreg[14]
v_accvgpr_read_b32 v[vgprValuC+23], acc15 // copy acc to vreg[15]
s_nop 1                                            // 2 wait states required before reading vgpr

/* rC *= alpha batchElements=[(0, 0, 0, 0), (1, 0, 0, 0), (2, 0, 0, 0), (3, 0, 0, 0)] */
v_mul_f32 v[vgprValuC+8], s[sgprAlpha], v[vgprValuC+8] // *= alpha
v_mul_f32 v[vgprValuC+9], s[sgprAlpha], v[vgprValuC+9] // *= alpha
	;; [unrolled: 1-line block ×16, first 2 shown]

/* apply mask, calc new C and issue writes */
_buffer_store_b128 v[8:11], v6, s[sgprSrdD:sgprSrdD+3], 0, offen, offset:0 // store D
s_mul_i32 s54, s[sgprStrideD1J], 64                // scale StrideD *= numRows(16) * bpe
s_add_u32  s[sgprSrdD+0], s[sgprSrdD+0], s54       // incToNextRow: gra SRD += inc(lower)
s_addc_u32  s[sgprSrdD+1], s[sgprSrdD+1], 0        // incToNextRow: gra SRD += inc(upper)
_buffer_store_b128 v[12:15], v6, s[sgprSrdD:sgprSrdD+3], 0, offen, offset:0 // store D
s_mul_i32 s54, s[sgprStrideD1J], 64                // scale StrideD *= numRows(16) * bpe
s_add_u32  s[sgprSrdD+0], s[sgprSrdD+0], s54       // incToNextRow: gra SRD += inc(lower)
s_addc_u32  s[sgprSrdD+1], s[sgprSrdD+1], 0        // incToNextRow: gra SRD += inc(upper)
	;; [unrolled: 4-line block ×3, first 2 shown]
_buffer_store_b128 v[20:23], v6, s[sgprSrdD:sgprSrdD+3], 0, offen, offset:0 // store D
s_nop 0                                            // 1 wait state required when next inst writes vgprs held by previous dwordx4 store inst
s_branch label_GW_End_50                           // jump to end
GW_B0_E1_42:

/* edge=1, allocate 6 sgpr. perBatchTmpS=4 perBatchMaskS=2 perElementMaskS=0 elementsPerBatch=72 */
/* optSingleColVgpr=0 optSharedColVgpr=0 optSGPRUsage=BufferLoad_Edge_Mask optSrdIncForRow=0 */

/******************************************/
/* Global Write Alpha Edge Batch #0 (d1,d0,vc1,vc0) = */
/*    (0,0,0,0:vw1); (0,0,0,1:vw1); (0,0,0,2:vw1); (0,0,0,3:vw1); (1,0,0,0:vw1); (1,0,0,1:vw1); (1,0,0,2:vw1); (1,0,0,3:vw1); (2,0,0,0:vw1); (2,0,0,1:vw1); (2,0,0,2:vw1); (2,0,0,3:vw1); (3,0,0,0:vw1); (3,0,0,1:vw1); (3,0,0,2:vw1); (3,0,0,3:vw1) */
/******************************************/

/* calc coords, apply mask, and issue loads (if necessary) */
/* (d1,vc1,d0,vc0)=(0,0,0,0) */
v_cmp_lt_u32 s[54:55], v0, s[sgprSizeI]            // coord0 < size0
v_cmp_lt_u32 s[58:59], v1, s[sgprSizeJ]            // coord1 < size1
s_and_b64 s[58:59], s[54:55], s[58:59]             // in0 && in1
_v_add_lshl_u32 v6, v3, v0, 0x2                    // scaleToBpe: accumulate d0 lower and *= bpe into Cin addr
v_cndmask_b32 v6, -1, v6, s[58:59]                 // LDD clip if OOB. offset
/* (d1,vc1,d0,vc0)=(0,0,0,1) */
_v_add_co_u32 v4, vcc, v0, 1                       // coord0.1: coord0 += d0*sg0*VW + vc0
v_cmp_lt_u32 s[54:55], v4, s[sgprSizeI]            // coord0 < size0
v_cmp_lt_u32 s[58:59], v1, s[sgprSizeJ]            // coord1 < size1
s_and_b64 s[58:59], s[54:55], s[58:59]             // in0 && in1
_v_add_lshl_u32 v8, v3, v4, 0x2                    // scaleToBpe: accumulate d0 lower and *= bpe into Cin addr
v_cndmask_b32 v8, -1, v8, s[58:59]                 // LDD clip if OOB. offset
/* (d1,vc1,d0,vc0)=(0,0,0,2) */
_v_add_co_u32 v4, vcc, v0, 2                       // coord0.1: coord0 += d0*sg0*VW + vc0
v_cmp_lt_u32 s[54:55], v4, s[sgprSizeI]            // coord0 < size0
v_cmp_lt_u32 s[58:59], v1, s[sgprSizeJ]            // coord1 < size1
s_and_b64 s[58:59], s[54:55], s[58:59]             // in0 && in1
_v_add_lshl_u32 v10, v3, v4, 0x2                   // scaleToBpe: accumulate d0 lower and *= bpe into Cin addr
v_cndmask_b32 v10, -1, v10, s[58:59]               // LDD clip if OOB. offset
/* (d1,vc1,d0,vc0)=(0,0,0,3) */
_v_add_co_u32 v4, vcc, v0, 3                       // coord0.1: coord0 += d0*sg0*VW + vc0
v_cmp_lt_u32 s[54:55], v4, s[sgprSizeI]            // coord0 < size0
v_cmp_lt_u32 s[58:59], v1, s[sgprSizeJ]            // coord1 < size1
s_and_b64 s[58:59], s[54:55], s[58:59]             // in0 && in1
_v_add_lshl_u32 v12, v3, v4, 0x2                   // scaleToBpe: accumulate d0 lower and *= bpe into Cin addr
v_cndmask_b32 v12, -1, v12, s[58:59]               // LDD clip if OOB. offset
/* (d1,vc1,d0,vc0)=(1,0,0,0) */
_v_add_co_u32 v1, vcc, v1, 16                      // coord1.1: coord1Vgpr += d1*sg1*VW + vc1

/* Fix for UseInitialStridesCD, emitAddressSetupCode */
s_mul_i32 s54, s[sgprStrideC1J], 16                // scale stride
_v_add_u32 v2, v2, s54                             // ROWINC- Move cinRowPtr to next row
s_mul_i32 s54, s[sgprStrideD1J], 16                // scale stride
_v_add_u32 v3, v3, s54                             // Move coutRowPtr to next row
v_cmp_lt_u32 s[54:55], v0, s[sgprSizeI]            // coord0 < size0
v_cmp_lt_u32 s[58:59], v1, s[sgprSizeJ]            // coord1 < size1
s_and_b64 s[58:59], s[54:55], s[58:59]             // in0 && in1
_v_add_lshl_u32 v14, v3, v0, 0x2                   // scaleToBpe: accumulate d0 lower and *= bpe into Cin addr
v_cndmask_b32 v14, -1, v14, s[58:59]               // LDD clip if OOB. offset
/* (d1,vc1,d0,vc0)=(1,0,0,1) */
_v_add_co_u32 v4, vcc, v0, 1                       // coord0.1: coord0 += d0*sg0*VW + vc0
v_cmp_lt_u32 s[54:55], v4, s[sgprSizeI]            // coord0 < size0
v_cmp_lt_u32 s[58:59], v1, s[sgprSizeJ]            // coord1 < size1
s_and_b64 s[58:59], s[54:55], s[58:59]             // in0 && in1
_v_add_lshl_u32 v16, v3, v4, 0x2                   // scaleToBpe: accumulate d0 lower and *= bpe into Cin addr
v_cndmask_b32 v16, -1, v16, s[58:59]               // LDD clip if OOB. offset
/* (d1,vc1,d0,vc0)=(1,0,0,2) */
_v_add_co_u32 v4, vcc, v0, 2                       // coord0.1: coord0 += d0*sg0*VW + vc0
v_cmp_lt_u32 s[54:55], v4, s[sgprSizeI]            // coord0 < size0
v_cmp_lt_u32 s[58:59], v1, s[sgprSizeJ]            // coord1 < size1
s_and_b64 s[58:59], s[54:55], s[58:59]             // in0 && in1
_v_add_lshl_u32 v18, v3, v4, 0x2                   // scaleToBpe: accumulate d0 lower and *= bpe into Cin addr
v_cndmask_b32 v18, -1, v18, s[58:59]               // LDD clip if OOB. offset
/* (d1,vc1,d0,vc0)=(1,0,0,3) */
_v_add_co_u32 v4, vcc, v0, 3                       // coord0.1: coord0 += d0*sg0*VW + vc0
v_cmp_lt_u32 s[54:55], v4, s[sgprSizeI]            // coord0 < size0
v_cmp_lt_u32 s[58:59], v1, s[sgprSizeJ]            // coord1 < size1
s_and_b64 s[58:59], s[54:55], s[58:59]             // in0 && in1
_v_add_lshl_u32 v20, v3, v4, 0x2                   // scaleToBpe: accumulate d0 lower and *= bpe into Cin addr
v_cndmask_b32 v20, -1, v20, s[58:59]               // LDD clip if OOB. offset
/* (d1,vc1,d0,vc0)=(2,0,0,0) */
_v_add_co_u32 v1, vcc, v1, 16                      // coord1.1: coord1Vgpr += d1*sg1*VW + vc1

/* Fix for UseInitialStridesCD, emitAddressSetupCode */
s_mul_i32 s54, s[sgprStrideC1J], 16                // scale stride
_v_add_u32 v2, v2, s54                             // ROWINC- Move cinRowPtr to next row
s_mul_i32 s54, s[sgprStrideD1J], 16                // scale stride
_v_add_u32 v3, v3, s54                             // Move coutRowPtr to next row
v_cmp_lt_u32 s[54:55], v0, s[sgprSizeI]            // coord0 < size0
v_cmp_lt_u32 s[58:59], v1, s[sgprSizeJ]            // coord1 < size1
s_and_b64 s[58:59], s[54:55], s[58:59]             // in0 && in1
_v_add_lshl_u32 v22, v3, v0, 0x2                   // scaleToBpe: accumulate d0 lower and *= bpe into Cin addr
v_cndmask_b32 v22, -1, v22, s[58:59]               // LDD clip if OOB. offset
/* (d1,vc1,d0,vc0)=(2,0,0,1) */
_v_add_co_u32 v4, vcc, v0, 1                       // coord0.1: coord0 += d0*sg0*VW + vc0
v_cmp_lt_u32 s[54:55], v4, s[sgprSizeI]            // coord0 < size0
v_cmp_lt_u32 s[58:59], v1, s[sgprSizeJ]            // coord1 < size1
s_and_b64 s[58:59], s[54:55], s[58:59]             // in0 && in1
_v_add_lshl_u32 v24, v3, v4, 0x2                   // scaleToBpe: accumulate d0 lower and *= bpe into Cin addr
v_cndmask_b32 v24, -1, v24, s[58:59]               // LDD clip if OOB. offset
/* (d1,vc1,d0,vc0)=(2,0,0,2) */
_v_add_co_u32 v4, vcc, v0, 2                       // coord0.1: coord0 += d0*sg0*VW + vc0
v_cmp_lt_u32 s[54:55], v4, s[sgprSizeI]            // coord0 < size0
v_cmp_lt_u32 s[58:59], v1, s[sgprSizeJ]            // coord1 < size1
s_and_b64 s[58:59], s[54:55], s[58:59]             // in0 && in1
_v_add_lshl_u32 v26, v3, v4, 0x2                   // scaleToBpe: accumulate d0 lower and *= bpe into Cin addr
v_cndmask_b32 v26, -1, v26, s[58:59]               // LDD clip if OOB. offset
/* (d1,vc1,d0,vc0)=(2,0,0,3) */
_v_add_co_u32 v4, vcc, v0, 3                       // coord0.1: coord0 += d0*sg0*VW + vc0
v_cmp_lt_u32 s[54:55], v4, s[sgprSizeI]            // coord0 < size0
v_cmp_lt_u32 s[58:59], v1, s[sgprSizeJ]            // coord1 < size1
s_and_b64 s[58:59], s[54:55], s[58:59]             // in0 && in1
_v_add_lshl_u32 v28, v3, v4, 0x2                   // scaleToBpe: accumulate d0 lower and *= bpe into Cin addr
v_cndmask_b32 v28, -1, v28, s[58:59]               // LDD clip if OOB. offset
/* (d1,vc1,d0,vc0)=(3,0,0,0) */
_v_add_co_u32 v1, vcc, v1, 16                      // coord1.1: coord1Vgpr += d1*sg1*VW + vc1

/* Fix for UseInitialStridesCD, emitAddressSetupCode */
s_mul_i32 s54, s[sgprStrideC1J], 16                // scale stride
_v_add_u32 v2, v2, s54                             // ROWINC- Move cinRowPtr to next row
s_mul_i32 s54, s[sgprStrideD1J], 16                // scale stride
_v_add_u32 v3, v3, s54                             // Move coutRowPtr to next row
v_cmp_lt_u32 s[54:55], v0, s[sgprSizeI]            // coord0 < size0
v_cmp_lt_u32 s[58:59], v1, s[sgprSizeJ]            // coord1 < size1
s_and_b64 s[58:59], s[54:55], s[58:59]             // in0 && in1
_v_add_lshl_u32 v30, v3, v0, 0x2                   // scaleToBpe: accumulate d0 lower and *= bpe into Cin addr
v_cndmask_b32 v30, -1, v30, s[58:59]               // LDD clip if OOB. offset
/* (d1,vc1,d0,vc0)=(3,0,0,1) */
_v_add_co_u32 v4, vcc, v0, 1                       // coord0.1: coord0 += d0*sg0*VW + vc0
v_cmp_lt_u32 s[54:55], v4, s[sgprSizeI]            // coord0 < size0
v_cmp_lt_u32 s[58:59], v1, s[sgprSizeJ]            // coord1 < size1
s_and_b64 s[58:59], s[54:55], s[58:59]             // in0 && in1
_v_add_lshl_u32 v32, v3, v4, 0x2                   // scaleToBpe: accumulate d0 lower and *= bpe into Cin addr
v_cndmask_b32 v32, -1, v32, s[58:59]               // LDD clip if OOB. offset
/* (d1,vc1,d0,vc0)=(3,0,0,2) */
_v_add_co_u32 v4, vcc, v0, 2                       // coord0.1: coord0 += d0*sg0*VW + vc0
v_cmp_lt_u32 s[54:55], v4, s[sgprSizeI]            // coord0 < size0
v_cmp_lt_u32 s[58:59], v1, s[sgprSizeJ]            // coord1 < size1
s_and_b64 s[58:59], s[54:55], s[58:59]             // in0 && in1
_v_add_lshl_u32 v34, v3, v4, 0x2                   // scaleToBpe: accumulate d0 lower and *= bpe into Cin addr
v_cndmask_b32 v34, -1, v34, s[58:59]               // LDD clip if OOB. offset
/* (d1,vc1,d0,vc0)=(3,0,0,3) */
_v_add_co_u32 v4, vcc, v0, 3                       // coord0.1: coord0 += d0*sg0*VW + vc0
v_cmp_lt_u32 s[54:55], v4, s[sgprSizeI]            // coord0 < size0
v_cmp_lt_u32 s[58:59], v1, s[sgprSizeJ]            // coord1 < size1
s_and_b64 s[58:59], s[54:55], s[58:59]             // in0 && in1
_v_add_lshl_u32 v36, v3, v4, 0x2                   // scaleToBpe: accumulate d0 lower and *= bpe into Cin addr
v_cndmask_b32 v36, -1, v36, s[58:59]               // LDD clip if OOB. offset
v_accvgpr_read_b32 v[vgprValuC+7], acc0 // copy acc to vreg[0]
v_accvgpr_read_b32 v[vgprValuC+9], acc1 // copy acc to vreg[1]
v_accvgpr_read_b32 v[vgprValuC+11], acc2 // copy acc to vreg[2]
v_accvgpr_read_b32 v[vgprValuC+13], acc3 // copy acc to vreg[3]
v_accvgpr_read_b32 v[vgprValuC+15], acc4 // copy acc to vreg[4]
v_accvgpr_read_b32 v[vgprValuC+17], acc5 // copy acc to vreg[5]
v_accvgpr_read_b32 v[vgprValuC+19], acc6 // copy acc to vreg[6]
v_accvgpr_read_b32 v[vgprValuC+21], acc7 // copy acc to vreg[7]
v_accvgpr_read_b32 v[vgprValuC+23], acc8 // copy acc to vreg[8]
v_accvgpr_read_b32 v[vgprValuC+25], acc9 // copy acc to vreg[9]
v_accvgpr_read_b32 v[vgprValuC+27], acc10 // copy acc to vreg[10]
v_accvgpr_read_b32 v[vgprValuC+29], acc11 // copy acc to vreg[11]
v_accvgpr_read_b32 v[vgprValuC+31], acc12 // copy acc to vreg[12]
v_accvgpr_read_b32 v[vgprValuC+33], acc13 // copy acc to vreg[13]
v_accvgpr_read_b32 v[vgprValuC+35], acc14 // copy acc to vreg[14]
v_accvgpr_read_b32 v[vgprValuC+37], acc15 // copy acc to vreg[15]
s_nop 1                                            // 2 wait states required before reading vgpr

/* rC *= alpha batchElements=[(0, 0, 0, 0), (0, 0, 0, 1), (0, 0, 0, 2), (0, 0, 0, 3), (1, 0, 0, 0), (1, 0, 0, 1), (1, 0, 0, 2), (1, 0, 0, 3), (2, 0, 0, 0), (2, 0, 0, 1), (2, 0, 0, 2), (2, 0, 0, 3), (3, 0, 0, 0), (3, 0, 0, 1), (3, 0, 0, 2), (3, 0, 0, 3)] */
v_mul_f32 v[vgprValuC+7], s[sgprAlpha], v[vgprValuC+7] // *= alpha
v_mul_f32 v[vgprValuC+9], s[sgprAlpha], v[vgprValuC+9] // *= alpha
	;; [unrolled: 1-line block ×16, first 2 shown]

/* apply mask, calc new C and issue writes */
_buffer_store_b32 v7, v6, s[sgprSrdD:sgprSrdD+3], 0, offen, offset:0 // store D
_buffer_store_b32 v9, v8, s[sgprSrdD:sgprSrdD+3], 0, offen, offset:0 // store D
	;; [unrolled: 1-line block ×16, first 2 shown]
s_nop 0                                            // 1 wait state required when next inst writes vgprs held by previous dwordx4 store inst
s_branch label_GW_End_50                           // jump to end
GW_Beta_51:
s_and_b32 s54, 15, s[sgprSizeI]                    // s54 = s[sgprSizeI] % 16
s_add_u32 s55, -0x1, s[sgprNumWorkGroups0]         // 
s_cmp_ge_u32 s[sgprWorkGroup0], s55                // wg0 >= nwg0-1 ?
s_cselect_b32 s54, s54, 0                          // set rMT0
s_cmpk_gt_u32 s54, 0x0                             // rMT0 > 0
s_cbranch_scc1 GW_B1_E1_49                         // jump if edges required
s_and_b32 s54, 255, s[sgprSizeJ]                   // s54 = s[sgprSizeJ] % 256
s_add_u32 s55, -0x1, s[sgprNumWorkGroups1]         // 
s_cmp_ge_u32 s[sgprWorkGroup1], s55                // wg1 >= nwg1-1
s_cselect_b32 s54, s54, 0                          // set rMT1
s_cmpk_gt_u32 s54, 0x0                             // rMT1 > 0
s_cbranch_scc1 GW_B1_E1_49                         // jump if edges required
GW_B1_E0_46:

/* edge=0, allocate 2 sgpr. perBatchTmpS=2 perBatchMaskS=0 perElementMaskS=0 elementsPerBatch=17 */
/* optSingleColVgpr=1 optSharedColVgpr=0 optSGPRUsage=BufferLoad_Mask optSrdIncForRow=1 */

/******************************************/
/* Global Write Alpha Beta Batch #0 (d1,d0,vc1,vc0) = */
/*    (0,0,0,0:vw4); (1,0,0,0:vw4); (2,0,0,0:vw4); (3,0,0,0:vw4) */
/******************************************/

/* calc coords, apply mask, and issue loads (if necessary) */
/* (d1,vc1,d0,vc0)=(0,0,0,0) */
_v_add_lshl_u32 v7, v2, v0, 0x2                    // optSingleColVgpr scaleToBpe: sharedAddrVgpr <- cinRowPtr + coord0, scaled by BPE. BSHERE:coord0=0, coord0Vgpr=0
_buffer_load_b128 v[8:11], v7, s[sgprSrdC:sgprSrdC+3], 0, offen offset:0 // load C for beta calc
/* (d1,vc1,d0,vc0)=(1,0,0,0) */
s_mul_i32 s54, s[sgprStrideC1J], 64                // scale StrideC *= numRows(16) * bpe
s_add_u32  s[sgprSrdC+0], s[sgprSrdC+0], s54       // incToNextRow: gra SRD += inc(lower)
s_addc_u32  s[sgprSrdC+1], s[sgprSrdC+1], 0        // incToNextRow: gra SRD += inc(upper)
_buffer_load_b128 v[16:19], v7, s[sgprSrdC:sgprSrdC+3], 0, offen offset:0 // load C for beta calc
/* (d1,vc1,d0,vc0)=(2,0,0,0) */
s_mul_i32 s54, s[sgprStrideC1J], 64                // scale StrideC *= numRows(16) * bpe
s_add_u32  s[sgprSrdC+0], s[sgprSrdC+0], s54       // incToNextRow: gra SRD += inc(lower)
s_addc_u32  s[sgprSrdC+1], s[sgprSrdC+1], 0        // incToNextRow: gra SRD += inc(upper)
	;; [unrolled: 5-line block ×3, first 2 shown]
_buffer_load_b128 v[32:35], v7, s[sgprSrdC:sgprSrdC+3], 0, offen offset:0 // load C for beta calc
_v_add_lshl_u32 v6, v3, v0, 0x2                    // optSingleColVgpr scaleToBpe: sharedAddrVgpr <- cinRowPtr + coord0, scaled by BPE. BSHERE:coord0=0, coord0Vgpr=0
v_accvgpr_read_b32 v[vgprValuC+12], acc0 // copy acc to vreg[0]
v_accvgpr_read_b32 v[vgprValuC+13], acc1 // copy acc to vreg[1]
v_accvgpr_read_b32 v[vgprValuC+14], acc2 // copy acc to vreg[2]
v_accvgpr_read_b32 v[vgprValuC+15], acc3 // copy acc to vreg[3]
v_accvgpr_read_b32 v[vgprValuC+20], acc4 // copy acc to vreg[4]
v_accvgpr_read_b32 v[vgprValuC+21], acc5 // copy acc to vreg[5]
v_accvgpr_read_b32 v[vgprValuC+22], acc6 // copy acc to vreg[6]
v_accvgpr_read_b32 v[vgprValuC+23], acc7 // copy acc to vreg[7]
v_accvgpr_read_b32 v[vgprValuC+28], acc8 // copy acc to vreg[8]
v_accvgpr_read_b32 v[vgprValuC+29], acc9 // copy acc to vreg[9]
v_accvgpr_read_b32 v[vgprValuC+30], acc10 // copy acc to vreg[10]
v_accvgpr_read_b32 v[vgprValuC+31], acc11 // copy acc to vreg[11]
v_accvgpr_read_b32 v[vgprValuC+36], acc12 // copy acc to vreg[12]
v_accvgpr_read_b32 v[vgprValuC+37], acc13 // copy acc to vreg[13]
v_accvgpr_read_b32 v[vgprValuC+38], acc14 // copy acc to vreg[14]
v_accvgpr_read_b32 v[vgprValuC+39], acc15 // copy acc to vreg[15]
s_nop 1                                            // 2 wait states required before reading vgpr

/* rC *= alpha batchElements=[(0, 0, 0, 0), (1, 0, 0, 0), (2, 0, 0, 0), (3, 0, 0, 0)] */
v_mul_f32 v[vgprValuC+12], s[sgprAlpha], v[vgprValuC+12] // *= alpha
v_mul_f32 v[vgprValuC+13], s[sgprAlpha], v[vgprValuC+13] // *= alpha
	;; [unrolled: 1-line block ×16, first 2 shown]

/* apply mask, calc new C and issue writes */

s_waitcnt vmcnt(3)                                 // wait C (interleaved) 3 = 4 - 0 + 0 - 1
_v_mac_f32 v[vgprValuC+12], v8, s[sgprBeta]        // finalSum = sum*alpha + C*beta
_v_mac_f32 v[vgprValuC+13], v9, s[sgprBeta]        // finalSum = sum*alpha + C*beta
_v_mac_f32 v[vgprValuC+14], v10, s[sgprBeta]       // finalSum = sum*alpha + C*beta
_v_mac_f32 v[vgprValuC+15], v11, s[sgprBeta]       // finalSum = sum*alpha + C*beta
_buffer_store_b128 v[12:15], v6, s[sgprSrdD:sgprSrdD+3], 0, offen, offset:0 // store D

s_waitcnt vmcnt(3)                                 // wait C (interleaved) 3 = 4 - 1 + 1 - 1
_v_mac_f32 v[vgprValuC+20], v16, s[sgprBeta]       // finalSum = sum*alpha + C*beta
_v_mac_f32 v[vgprValuC+21], v17, s[sgprBeta]       // finalSum = sum*alpha + C*beta
_v_mac_f32 v[vgprValuC+22], v18, s[sgprBeta]       // finalSum = sum*alpha + C*beta
_v_mac_f32 v[vgprValuC+23], v19, s[sgprBeta]       // finalSum = sum*alpha + C*beta
s_mul_i32 s54, s[sgprStrideD1J], 64                // scale StrideD *= numRows(16) * bpe
s_add_u32  s[sgprSrdD+0], s[sgprSrdD+0], s54       // incToNextRow: gra SRD += inc(lower)
s_addc_u32  s[sgprSrdD+1], s[sgprSrdD+1], 0        // incToNextRow: gra SRD += inc(upper)
_buffer_store_b128 v[20:23], v6, s[sgprSrdD:sgprSrdD+3], 0, offen, offset:0 // store D

s_waitcnt vmcnt(3)                                 // wait C (interleaved) 3 = 4 - 2 + 2 - 1
_v_mac_f32 v[vgprValuC+28], v24, s[sgprBeta]       // finalSum = sum*alpha + C*beta
_v_mac_f32 v[vgprValuC+29], v25, s[sgprBeta]       // finalSum = sum*alpha + C*beta
_v_mac_f32 v[vgprValuC+30], v26, s[sgprBeta]       // finalSum = sum*alpha + C*beta
_v_mac_f32 v[vgprValuC+31], v27, s[sgprBeta]       // finalSum = sum*alpha + C*beta
s_mul_i32 s54, s[sgprStrideD1J], 64                // scale StrideD *= numRows(16) * bpe
s_add_u32  s[sgprSrdD+0], s[sgprSrdD+0], s54       // incToNextRow: gra SRD += inc(lower)
s_addc_u32  s[sgprSrdD+1], s[sgprSrdD+1], 0        // incToNextRow: gra SRD += inc(upper)
	;; [unrolled: 10-line block ×3, first 2 shown]
_buffer_store_b128 v[36:39], v6, s[sgprSrdD:sgprSrdD+3], 0, offen, offset:0 // store D
s_nop 0                                            // 1 wait state required when next inst writes vgprs held by previous dwordx4 store inst
s_branch label_GW_End_50                           // jump to end
GW_B1_E1_49:

/* edge=1, allocate 6 sgpr. perBatchTmpS=4 perBatchMaskS=2 perElementMaskS=0 elementsPerBatch=47 */
/* optSingleColVgpr=0 optSharedColVgpr=0 optSGPRUsage=BufferLoad_Edge_Mask optSrdIncForRow=0 */

/******************************************/
/* Global Write Alpha Beta Edge Batch #0 (d1,d0,vc1,vc0) = */
/*    (0,0,0,0:vw1); (0,0,0,1:vw1); (0,0,0,2:vw1); (0,0,0,3:vw1); (1,0,0,0:vw1); (1,0,0,1:vw1); (1,0,0,2:vw1); (1,0,0,3:vw1); (2,0,0,0:vw1); (2,0,0,1:vw1); (2,0,0,2:vw1); (2,0,0,3:vw1); (3,0,0,0:vw1); (3,0,0,1:vw1); (3,0,0,2:vw1); (3,0,0,3:vw1) */
/******************************************/

/* calc coords, apply mask, and issue loads (if necessary) */
/* (d1,vc1,d0,vc0)=(0,0,0,0) */
v_cmp_lt_u32 s[54:55], v0, s[sgprSizeI]            // coord0 < size0
v_cmp_lt_u32 s[58:59], v1, s[sgprSizeJ]            // coord1 < size1
s_and_b64 s[58:59], s[54:55], s[58:59]             // in0 && in1
_v_add_lshl_u32 v6, v2, v0, 0x2                    // scaleToBpe: accumulate d0 lower and *= bpe into Cin addr
v_cndmask_b32 v6, -1, v6, s[58:59]                 // LDC clip if OOB. offset
_buffer_load_b32 v7, v6, s[sgprSrdC:sgprSrdC+3], 0, offen offset:0 // load C for beta calc
_v_add_lshl_u32 v6, v3, v0, 0x2                    // scaleToBpe: accumulate d0 lower and *= bpe into Cin addr
v_cndmask_b32 v6, -1, v6, s[58:59]                 // LDD clip if OOB. offset
/* (d1,vc1,d0,vc0)=(0,0,0,1) */
_v_add_co_u32 v4, vcc, v0, 1                       // coord0.1: coord0 += d0*sg0*VW + vc0
v_cmp_lt_u32 s[54:55], v4, s[sgprSizeI]            // coord0 < size0
v_cmp_lt_u32 s[58:59], v1, s[sgprSizeJ]            // coord1 < size1
s_and_b64 s[58:59], s[54:55], s[58:59]             // in0 && in1
_v_add_lshl_u32 v9, v2, v4, 0x2                    // scaleToBpe: accumulate d0 lower and *= bpe into Cin addr
v_cndmask_b32 v9, -1, v9, s[58:59]                 // LDC clip if OOB. offset
_buffer_load_b32 v10, v9, s[sgprSrdC:sgprSrdC+3], 0, offen offset:0 // load C for beta calc
_v_add_lshl_u32 v9, v3, v4, 0x2                    // scaleToBpe: accumulate d0 lower and *= bpe into Cin addr
v_cndmask_b32 v9, -1, v9, s[58:59]                 // LDD clip if OOB. offset
/* (d1,vc1,d0,vc0)=(0,0,0,2) */
_v_add_co_u32 v4, vcc, v0, 2                       // coord0.1: coord0 += d0*sg0*VW + vc0
v_cmp_lt_u32 s[54:55], v4, s[sgprSizeI]            // coord0 < size0
v_cmp_lt_u32 s[58:59], v1, s[sgprSizeJ]            // coord1 < size1
s_and_b64 s[58:59], s[54:55], s[58:59]             // in0 && in1
_v_add_lshl_u32 v12, v2, v4, 0x2                   // scaleToBpe: accumulate d0 lower and *= bpe into Cin addr
v_cndmask_b32 v12, -1, v12, s[58:59]               // LDC clip if OOB. offset
_buffer_load_b32 v13, v12, s[sgprSrdC:sgprSrdC+3], 0, offen offset:0 // load C for beta calc
_v_add_lshl_u32 v12, v3, v4, 0x2                   // scaleToBpe: accumulate d0 lower and *= bpe into Cin addr
v_cndmask_b32 v12, -1, v12, s[58:59]               // LDD clip if OOB. offset
/* (d1,vc1,d0,vc0)=(0,0,0,3) */
_v_add_co_u32 v4, vcc, v0, 3                       // coord0.1: coord0 += d0*sg0*VW + vc0
v_cmp_lt_u32 s[54:55], v4, s[sgprSizeI]            // coord0 < size0
v_cmp_lt_u32 s[58:59], v1, s[sgprSizeJ]            // coord1 < size1
s_and_b64 s[58:59], s[54:55], s[58:59]             // in0 && in1
_v_add_lshl_u32 v15, v2, v4, 0x2                   // scaleToBpe: accumulate d0 lower and *= bpe into Cin addr
v_cndmask_b32 v15, -1, v15, s[58:59]               // LDC clip if OOB. offset
_buffer_load_b32 v16, v15, s[sgprSrdC:sgprSrdC+3], 0, offen offset:0 // load C for beta calc
_v_add_lshl_u32 v15, v3, v4, 0x2                   // scaleToBpe: accumulate d0 lower and *= bpe into Cin addr
v_cndmask_b32 v15, -1, v15, s[58:59]               // LDD clip if OOB. offset
/* (d1,vc1,d0,vc0)=(1,0,0,0) */
_v_add_co_u32 v1, vcc, v1, 16                      // coord1.1: coord1Vgpr += d1*sg1*VW + vc1

/* Fix for UseInitialStridesCD, emitAddressSetupCode */
s_mul_i32 s54, s[sgprStrideC1J], 16                // scale stride
_v_add_u32 v2, v2, s54                             // ROWINC- Move cinRowPtr to next row
s_mul_i32 s54, s[sgprStrideD1J], 16                // scale stride
_v_add_u32 v3, v3, s54                             // Move coutRowPtr to next row
v_cmp_lt_u32 s[54:55], v0, s[sgprSizeI]            // coord0 < size0
v_cmp_lt_u32 s[58:59], v1, s[sgprSizeJ]            // coord1 < size1
s_and_b64 s[58:59], s[54:55], s[58:59]             // in0 && in1
_v_add_lshl_u32 v18, v2, v0, 0x2                   // scaleToBpe: accumulate d0 lower and *= bpe into Cin addr
v_cndmask_b32 v18, -1, v18, s[58:59]               // LDC clip if OOB. offset
_buffer_load_b32 v19, v18, s[sgprSrdC:sgprSrdC+3], 0, offen offset:0 // load C for beta calc
_v_add_lshl_u32 v18, v3, v0, 0x2                   // scaleToBpe: accumulate d0 lower and *= bpe into Cin addr
v_cndmask_b32 v18, -1, v18, s[58:59]               // LDD clip if OOB. offset
/* (d1,vc1,d0,vc0)=(1,0,0,1) */
_v_add_co_u32 v4, vcc, v0, 1                       // coord0.1: coord0 += d0*sg0*VW + vc0
v_cmp_lt_u32 s[54:55], v4, s[sgprSizeI]            // coord0 < size0
v_cmp_lt_u32 s[58:59], v1, s[sgprSizeJ]            // coord1 < size1
s_and_b64 s[58:59], s[54:55], s[58:59]             // in0 && in1
_v_add_lshl_u32 v21, v2, v4, 0x2                   // scaleToBpe: accumulate d0 lower and *= bpe into Cin addr
v_cndmask_b32 v21, -1, v21, s[58:59]               // LDC clip if OOB. offset
_buffer_load_b32 v22, v21, s[sgprSrdC:sgprSrdC+3], 0, offen offset:0 // load C for beta calc
_v_add_lshl_u32 v21, v3, v4, 0x2                   // scaleToBpe: accumulate d0 lower and *= bpe into Cin addr
v_cndmask_b32 v21, -1, v21, s[58:59]               // LDD clip if OOB. offset
/* (d1,vc1,d0,vc0)=(1,0,0,2) */
_v_add_co_u32 v4, vcc, v0, 2                       // coord0.1: coord0 += d0*sg0*VW + vc0
v_cmp_lt_u32 s[54:55], v4, s[sgprSizeI]            // coord0 < size0
v_cmp_lt_u32 s[58:59], v1, s[sgprSizeJ]            // coord1 < size1
s_and_b64 s[58:59], s[54:55], s[58:59]             // in0 && in1
_v_add_lshl_u32 v24, v2, v4, 0x2                   // scaleToBpe: accumulate d0 lower and *= bpe into Cin addr
v_cndmask_b32 v24, -1, v24, s[58:59]               // LDC clip if OOB. offset
_buffer_load_b32 v25, v24, s[sgprSrdC:sgprSrdC+3], 0, offen offset:0 // load C for beta calc
_v_add_lshl_u32 v24, v3, v4, 0x2                   // scaleToBpe: accumulate d0 lower and *= bpe into Cin addr
v_cndmask_b32 v24, -1, v24, s[58:59]               // LDD clip if OOB. offset
/* (d1,vc1,d0,vc0)=(1,0,0,3) */
_v_add_co_u32 v4, vcc, v0, 3                       // coord0.1: coord0 += d0*sg0*VW + vc0
v_cmp_lt_u32 s[54:55], v4, s[sgprSizeI]            // coord0 < size0
v_cmp_lt_u32 s[58:59], v1, s[sgprSizeJ]            // coord1 < size1
s_and_b64 s[58:59], s[54:55], s[58:59]             // in0 && in1
_v_add_lshl_u32 v27, v2, v4, 0x2                   // scaleToBpe: accumulate d0 lower and *= bpe into Cin addr
v_cndmask_b32 v27, -1, v27, s[58:59]               // LDC clip if OOB. offset
_buffer_load_b32 v28, v27, s[sgprSrdC:sgprSrdC+3], 0, offen offset:0 // load C for beta calc
_v_add_lshl_u32 v27, v3, v4, 0x2                   // scaleToBpe: accumulate d0 lower and *= bpe into Cin addr
v_cndmask_b32 v27, -1, v27, s[58:59]               // LDD clip if OOB. offset
/* (d1,vc1,d0,vc0)=(2,0,0,0) */
_v_add_co_u32 v1, vcc, v1, 16                      // coord1.1: coord1Vgpr += d1*sg1*VW + vc1

/* Fix for UseInitialStridesCD, emitAddressSetupCode */
s_mul_i32 s54, s[sgprStrideC1J], 16                // scale stride
_v_add_u32 v2, v2, s54                             // ROWINC- Move cinRowPtr to next row
s_mul_i32 s54, s[sgprStrideD1J], 16                // scale stride
_v_add_u32 v3, v3, s54                             // Move coutRowPtr to next row
v_cmp_lt_u32 s[54:55], v0, s[sgprSizeI]            // coord0 < size0
v_cmp_lt_u32 s[58:59], v1, s[sgprSizeJ]            // coord1 < size1
s_and_b64 s[58:59], s[54:55], s[58:59]             // in0 && in1
_v_add_lshl_u32 v30, v2, v0, 0x2                   // scaleToBpe: accumulate d0 lower and *= bpe into Cin addr
v_cndmask_b32 v30, -1, v30, s[58:59]               // LDC clip if OOB. offset
_buffer_load_b32 v31, v30, s[sgprSrdC:sgprSrdC+3], 0, offen offset:0 // load C for beta calc
_v_add_lshl_u32 v30, v3, v0, 0x2                   // scaleToBpe: accumulate d0 lower and *= bpe into Cin addr
v_cndmask_b32 v30, -1, v30, s[58:59]               // LDD clip if OOB. offset
/* (d1,vc1,d0,vc0)=(2,0,0,1) */
_v_add_co_u32 v4, vcc, v0, 1                       // coord0.1: coord0 += d0*sg0*VW + vc0
v_cmp_lt_u32 s[54:55], v4, s[sgprSizeI]            // coord0 < size0
v_cmp_lt_u32 s[58:59], v1, s[sgprSizeJ]            // coord1 < size1
s_and_b64 s[58:59], s[54:55], s[58:59]             // in0 && in1
_v_add_lshl_u32 v33, v2, v4, 0x2                   // scaleToBpe: accumulate d0 lower and *= bpe into Cin addr
v_cndmask_b32 v33, -1, v33, s[58:59]               // LDC clip if OOB. offset
_buffer_load_b32 v34, v33, s[sgprSrdC:sgprSrdC+3], 0, offen offset:0 // load C for beta calc
_v_add_lshl_u32 v33, v3, v4, 0x2                   // scaleToBpe: accumulate d0 lower and *= bpe into Cin addr
v_cndmask_b32 v33, -1, v33, s[58:59]               // LDD clip if OOB. offset
	;; [unrolled: 46-line block ×3, first 2 shown]
/* (d1,vc1,d0,vc0)=(3,0,0,2) */
_v_add_co_u32 v4, vcc, v0, 2                       // coord0.1: coord0 += d0*sg0*VW + vc0
v_cmp_lt_u32 s[54:55], v4, s[sgprSizeI]            // coord0 < size0
v_cmp_lt_u32 s[58:59], v1, s[sgprSizeJ]            // coord1 < size1
s_and_b64 s[58:59], s[54:55], s[58:59]             // in0 && in1
_v_add_lshl_u32 v48, v2, v4, 0x2                   // scaleToBpe: accumulate d0 lower and *= bpe into Cin addr
v_cndmask_b32 v48, -1, v48, s[58:59]               // LDC clip if OOB. offset
_buffer_load_b32 v49, v48, s[sgprSrdC:sgprSrdC+3], 0, offen offset:0 // load C for beta calc
_v_add_lshl_u32 v48, v3, v4, 0x2                   // scaleToBpe: accumulate d0 lower and *= bpe into Cin addr
v_cndmask_b32 v48, -1, v48, s[58:59]               // LDD clip if OOB. offset
/* (d1,vc1,d0,vc0)=(3,0,0,3) */
_v_add_co_u32 v4, vcc, v0, 3                       // coord0.1: coord0 += d0*sg0*VW + vc0
v_cmp_lt_u32 s[54:55], v4, s[sgprSizeI]            // coord0 < size0
v_cmp_lt_u32 s[58:59], v1, s[sgprSizeJ]            // coord1 < size1
s_and_b64 s[58:59], s[54:55], s[58:59]             // in0 && in1
_v_add_lshl_u32 v51, v2, v4, 0x2                   // scaleToBpe: accumulate d0 lower and *= bpe into Cin addr
v_cndmask_b32 v51, -1, v51, s[58:59]               // LDC clip if OOB. offset
_buffer_load_b32 v52, v51, s[sgprSrdC:sgprSrdC+3], 0, offen offset:0 // load C for beta calc
_v_add_lshl_u32 v51, v3, v4, 0x2                   // scaleToBpe: accumulate d0 lower and *= bpe into Cin addr
v_cndmask_b32 v51, -1, v51, s[58:59]               // LDD clip if OOB. offset
v_accvgpr_read_b32 v[vgprValuC+8], acc0 // copy acc to vreg[0]
v_accvgpr_read_b32 v[vgprValuC+11], acc1 // copy acc to vreg[1]
v_accvgpr_read_b32 v[vgprValuC+14], acc2 // copy acc to vreg[2]
v_accvgpr_read_b32 v[vgprValuC+17], acc3 // copy acc to vreg[3]
v_accvgpr_read_b32 v[vgprValuC+20], acc4 // copy acc to vreg[4]
v_accvgpr_read_b32 v[vgprValuC+23], acc5 // copy acc to vreg[5]
v_accvgpr_read_b32 v[vgprValuC+26], acc6 // copy acc to vreg[6]
v_accvgpr_read_b32 v[vgprValuC+29], acc7 // copy acc to vreg[7]
v_accvgpr_read_b32 v[vgprValuC+32], acc8 // copy acc to vreg[8]
v_accvgpr_read_b32 v[vgprValuC+35], acc9 // copy acc to vreg[9]
v_accvgpr_read_b32 v[vgprValuC+38], acc10 // copy acc to vreg[10]
v_accvgpr_read_b32 v[vgprValuC+41], acc11 // copy acc to vreg[11]
v_accvgpr_read_b32 v[vgprValuC+44], acc12 // copy acc to vreg[12]
v_accvgpr_read_b32 v[vgprValuC+47], acc13 // copy acc to vreg[13]
v_accvgpr_read_b32 v[vgprValuC+50], acc14 // copy acc to vreg[14]
v_accvgpr_read_b32 v[vgprValuC+53], acc15 // copy acc to vreg[15]
s_nop 1                                            // 2 wait states required before reading vgpr

/* rC *= alpha batchElements=[(0, 0, 0, 0), (0, 0, 0, 1), (0, 0, 0, 2), (0, 0, 0, 3), (1, 0, 0, 0), (1, 0, 0, 1), (1, 0, 0, 2), (1, 0, 0, 3), (2, 0, 0, 0), (2, 0, 0, 1), (2, 0, 0, 2), (2, 0, 0, 3), (3, 0, 0, 0), (3, 0, 0, 1), (3, 0, 0, 2), (3, 0, 0, 3)] */
v_mul_f32 v[vgprValuC+8], s[sgprAlpha], v[vgprValuC+8] // *= alpha
v_mul_f32 v[vgprValuC+11], s[sgprAlpha], v[vgprValuC+11] // *= alpha
	;; [unrolled: 1-line block ×16, first 2 shown]
s_waitcnt vmcnt(0)                                 // wait C

/* apply mask, calc new C and issue writes */
_v_mac_f32 v[vgprValuC+8], v7, s[sgprBeta]         // finalSum = sum*alpha + C*beta
_buffer_store_b32 v8, v6, s[sgprSrdD:sgprSrdD+3], 0, offen, offset:0 // store D
_v_mac_f32 v[vgprValuC+11], v10, s[sgprBeta]       // finalSum = sum*alpha + C*beta
_buffer_store_b32 v11, v9, s[sgprSrdD:sgprSrdD+3], 0, offen, offset:0 // store D
_v_mac_f32 v[vgprValuC+14], v13, s[sgprBeta]       // finalSum = sum*alpha + C*beta
	;; [unrolled: 2-line block ×15, first 2 shown]
_buffer_store_b32 v53, v51, s[sgprSrdD:sgprSrdD+3], 0, offen, offset:0 // store D
s_nop 0                                            // 1 wait state required when next inst writes vgprs held by previous dwordx4 store inst
s_branch label_GW_End_50                           // jump to end
label_GW_End_50:

label_0055:  /// KernelEnd
s_endpgm                                           // Kernel End

